;; amdgpu-corpus repo=ROCm/rocFFT kind=compiled arch=gfx950 opt=O3
	.text
	.amdgcn_target "amdgcn-amd-amdhsa--gfx950"
	.amdhsa_code_object_version 6
	.protected	bluestein_single_back_len459_dim1_sp_op_CI_CI ; -- Begin function bluestein_single_back_len459_dim1_sp_op_CI_CI
	.globl	bluestein_single_back_len459_dim1_sp_op_CI_CI
	.p2align	8
	.type	bluestein_single_back_len459_dim1_sp_op_CI_CI,@function
bluestein_single_back_len459_dim1_sp_op_CI_CI: ; @bluestein_single_back_len459_dim1_sp_op_CI_CI
; %bb.0:
	s_load_dwordx4 s[8:11], s[0:1], 0x28
	v_mul_u32_u24_e32 v1, 0x506, v0
	v_lshrrev_b32_e32 v2, 16, v1
	v_mad_u64_u32 v[48:49], s[2:3], s2, 5, v[2:3]
	v_mov_b32_e32 v49, 0
	s_waitcnt lgkmcnt(0)
	v_cmp_gt_u64_e32 vcc, s[8:9], v[48:49]
	s_and_saveexec_b64 s[2:3], vcc
	s_cbranch_execz .LBB0_15
; %bb.1:
	v_mul_lo_u16_e32 v1, 51, v2
	s_mov_b32 s2, 0xcccccccd
	v_sub_u16_e32 v72, v0, v1
	v_mul_hi_u32 v0, v48, s2
	v_lshrrev_b32_e32 v0, 2, v0
	s_load_dwordx2 s[8:9], s[0:1], 0x0
	s_load_dwordx2 s[12:13], s[0:1], 0x38
	v_lshl_add_u32 v0, v0, 2, v0
	v_sub_u32_e32 v0, v48, v0
	v_mul_u32_u24_e32 v49, 0x1cb, v0
	v_lshlrev_b32_e32 v0, 3, v72
	v_accvgpr_write_b32 a0, v0
	v_lshlrev_b32_e32 v0, 3, v49
	v_cmp_gt_u16_e32 vcc, 27, v72
	v_accvgpr_write_b32 a1, v0
	s_mov_b64 s[2:3], exec
	s_and_b64 s[4:5], s[2:3], vcc
	v_accvgpr_write_b32 a2, v48
	s_mov_b64 exec, s[4:5]
	s_cbranch_execz .LBB0_3
; %bb.2:
	s_load_dwordx2 s[4:5], s[0:1], 0x18
	v_mov_b32_e32 v0, s10
	v_mov_b32_e32 v1, s11
	;; [unrolled: 1-line block ×3, first 2 shown]
	v_accvgpr_read_b32 v49, a0
	s_waitcnt lgkmcnt(0)
	s_load_dwordx4 s[4:7], s[4:5], 0x0
	s_waitcnt lgkmcnt(0)
	v_mad_u64_u32 v[2:3], s[10:11], s6, v48, 0
	v_mad_u64_u32 v[4:5], s[10:11], s4, v72, 0
	v_mov_b32_e32 v6, v3
	v_mov_b32_e32 v8, v5
	v_mad_u64_u32 v[6:7], s[6:7], s7, v48, v[6:7]
	v_mov_b32_e32 v3, v6
	v_mad_u64_u32 v[6:7], s[6:7], s5, v72, v[8:9]
	v_mov_b32_e32 v5, v6
	v_lshl_add_u64 v[0:1], v[2:3], 3, v[0:1]
	v_lshl_add_u64 v[2:3], v[4:5], 3, v[0:1]
	v_mov_b32_e32 v48, 0xd8
	v_mad_u64_u32 v[6:7], s[6:7], s4, v48, v[2:3]
	s_mulk_i32 s5, 0xd8
	v_add_u32_e32 v7, s5, v7
	v_mad_u64_u32 v[8:9], s[6:7], s4, v48, v[6:7]
	v_add_u32_e32 v9, s5, v9
	global_load_dwordx2 v[0:1], v[2:3], off
                                        ; kill: killed $vgpr6 killed $vgpr7
	global_load_dwordx2 v[4:5], v49, s[8:9]
	s_nop 0
	global_load_dwordx2 v[2:3], v[6:7], off
	v_mad_u64_u32 v[6:7], s[6:7], s4, v48, v[8:9]
	v_add_u32_e32 v7, s5, v7
	global_load_dwordx2 v[10:11], v49, s[8:9] offset:216
	global_load_dwordx2 v[12:13], v49, s[8:9] offset:432
	;; [unrolled: 1-line block ×3, first 2 shown]
	global_load_dwordx2 v[16:17], v[8:9], off
	v_mad_u64_u32 v[8:9], s[6:7], s4, v48, v[6:7]
	v_add_u32_e32 v9, s5, v9
	global_load_dwordx2 v[18:19], v[6:7], off
	global_load_dwordx2 v[20:21], v[8:9], off
	global_load_dwordx2 v[22:23], v49, s[8:9] offset:864
	global_load_dwordx2 v[24:25], v49, s[8:9] offset:1080
	;; [unrolled: 1-line block ×4, first 2 shown]
	v_mad_u64_u32 v[6:7], s[6:7], s4, v48, v[8:9]
	v_add_u32_e32 v7, s5, v7
	global_load_dwordx2 v[8:9], v[6:7], off
	v_mad_u64_u32 v[6:7], s[6:7], s4, v48, v[6:7]
	v_add_u32_e32 v7, s5, v7
	global_load_dwordx2 v[30:31], v[6:7], off
	;; [unrolled: 3-line block ×4, first 2 shown]
	global_load_dwordx2 v[36:37], v49, s[8:9] offset:1728
	global_load_dwordx2 v[38:39], v49, s[8:9] offset:1944
	;; [unrolled: 1-line block ×4, first 2 shown]
	v_mad_u64_u32 v[6:7], s[6:7], s4, v48, v[6:7]
	v_add_u32_e32 v7, s5, v7
	global_load_dwordx2 v[44:45], v[6:7], off
	v_mad_u64_u32 v[6:7], s[6:7], s4, v48, v[6:7]
	v_add_u32_e32 v7, s5, v7
	global_load_dwordx2 v[46:47], v[6:7], off
	;; [unrolled: 3-line block ×4, first 2 shown]
	global_load_dwordx2 v[54:55], v49, s[8:9] offset:2592
	v_mad_u64_u32 v[6:7], s[6:7], s4, v48, v[6:7]
	v_add_u32_e32 v7, s5, v7
	global_load_dwordx2 v[56:57], v[6:7], off
	v_mad_u64_u32 v[6:7], s[6:7], s4, v48, v[6:7]
	v_add_u32_e32 v7, s5, v7
	global_load_dwordx2 v[58:59], v49, s[8:9] offset:2808
	global_load_dwordx2 v[60:61], v[6:7], off
	global_load_dwordx2 v[62:63], v49, s[8:9] offset:3024
	v_mad_u64_u32 v[6:7], s[6:7], s4, v48, v[6:7]
	v_add_u32_e32 v7, s5, v7
	global_load_dwordx2 v[64:65], v[6:7], off
	global_load_dwordx2 v[66:67], v49, s[8:9] offset:3240
	v_mad_u64_u32 v[6:7], s[6:7], s4, v48, v[6:7]
	v_add_u32_e32 v7, s5, v7
	global_load_dwordx2 v[68:69], v[6:7], off
	global_load_dwordx2 v[70:71], v49, s[8:9] offset:3456
	v_accvgpr_read_b32 v6, a1
	v_lshl_add_u32 v48, v72, 3, v6
	v_add_u32_e32 v49, v6, v49
	s_waitcnt vmcnt(32)
	v_mul_f32_e32 v6, v1, v5
	v_mul_f32_e32 v5, v0, v5
	v_fmac_f32_e32 v6, v0, v4
	v_fma_f32 v7, v1, v4, -v5
	s_waitcnt vmcnt(30)
	v_mul_f32_e32 v0, v3, v11
	v_mul_f32_e32 v1, v2, v11
	v_fmac_f32_e32 v0, v2, v10
	v_fma_f32 v1, v3, v10, -v1
	;; [unrolled: 5-line block ×3, first 2 shown]
	ds_write_b64 v48, v[6:7]
	ds_write2_b64 v49, v[0:1], v[2:3] offset0:27 offset1:54
	s_waitcnt vmcnt(26)
	v_mul_f32_e32 v0, v19, v15
	v_mul_f32_e32 v1, v18, v15
	s_waitcnt vmcnt(24)
	v_mul_f32_e32 v2, v21, v23
	v_mul_f32_e32 v3, v20, v23
	v_fmac_f32_e32 v0, v18, v14
	v_fma_f32 v1, v19, v14, -v1
	v_fmac_f32_e32 v2, v20, v22
	v_fma_f32 v3, v21, v22, -v3
	ds_write2_b64 v49, v[0:1], v[2:3] offset0:81 offset1:108
	s_waitcnt vmcnt(20)
	v_mul_f32_e32 v0, v9, v25
	v_mul_f32_e32 v1, v8, v25
	s_waitcnt vmcnt(19)
	v_mul_f32_e32 v2, v31, v27
	v_mul_f32_e32 v3, v30, v27
	v_fmac_f32_e32 v0, v8, v24
	v_fma_f32 v1, v9, v24, -v1
	v_fmac_f32_e32 v2, v30, v26
	v_fma_f32 v3, v31, v26, -v3
	;; [unrolled: 11-line block ×4, first 2 shown]
	v_add_u32_e32 v4, 0x400, v49
	ds_write2_b64 v4, v[0:1], v[2:3] offset0:115 offset1:142
	s_waitcnt vmcnt(10)
	v_mul_f32_e32 v0, v51, v43
	v_mul_f32_e32 v1, v50, v43
	s_waitcnt vmcnt(8)
	v_mul_f32_e32 v2, v53, v55
	v_mul_f32_e32 v3, v52, v55
	v_fmac_f32_e32 v0, v50, v42
	v_fma_f32 v1, v51, v42, -v1
	v_fmac_f32_e32 v2, v52, v54
	v_fma_f32 v3, v53, v54, -v3
	v_add_u32_e32 v4, 0x800, v49
	ds_write2_b64 v4, v[0:1], v[2:3] offset0:41 offset1:68
	s_waitcnt vmcnt(6)
	v_mul_f32_e32 v0, v57, v59
	v_mul_f32_e32 v1, v56, v59
	s_waitcnt vmcnt(4)
	v_mul_f32_e32 v2, v61, v63
	v_mul_f32_e32 v3, v60, v63
	v_fmac_f32_e32 v0, v56, v58
	v_fma_f32 v1, v57, v58, -v1
	v_fmac_f32_e32 v2, v60, v62
	v_fma_f32 v3, v61, v62, -v3
	ds_write2_b64 v4, v[0:1], v[2:3] offset0:95 offset1:122
	s_waitcnt vmcnt(2)
	v_mul_f32_e32 v0, v65, v67
	v_mul_f32_e32 v1, v64, v67
	s_waitcnt vmcnt(0)
	v_mul_f32_e32 v2, v69, v71
	v_mul_f32_e32 v3, v68, v71
	v_mov_b32_e32 v49, v73
	v_accvgpr_read_b32 v48, a2
	v_fmac_f32_e32 v0, v64, v66
	v_fma_f32 v1, v65, v66, -v1
	v_fmac_f32_e32 v2, v68, v70
	v_fma_f32 v3, v69, v70, -v3
	ds_write2_b64 v4, v[0:1], v[2:3] offset0:149 offset1:176
.LBB0_3:
	s_or_b64 exec, exec, s[2:3]
	s_load_dwordx2 s[2:3], s[0:1], 0x20
	s_load_dwordx2 s[4:5], s[0:1], 0x8
	v_accvgpr_write_b32 a4, v72
	v_mov_b32_e32 v0, 0
	v_mov_b32_e32 v1, 0
	s_waitcnt lgkmcnt(0)
	s_barrier
	s_waitcnt lgkmcnt(0)
                                        ; implicit-def: $vgpr6
                                        ; implicit-def: $vgpr12
                                        ; implicit-def: $vgpr10
                                        ; implicit-def: $vgpr20
                                        ; implicit-def: $vgpr18
                                        ; implicit-def: $vgpr36
                                        ; implicit-def: $vgpr34
                                        ; implicit-def: $vgpr26
	s_and_saveexec_b64 s[0:1], vcc
	s_cbranch_execz .LBB0_5
; %bb.4:
	v_accvgpr_read_b32 v0, a0
	v_lshl_add_u32 v28, v49, 3, v0
	ds_read2_b64 v[0:3], v28 offset1:27
	ds_read2_b64 v[24:27], v28 offset0:54 offset1:81
	ds_read2_b64 v[16:19], v28 offset0:108 offset1:135
	;; [unrolled: 1-line block ×4, first 2 shown]
	v_add_u32_e32 v29, 0x800, v28
	ds_read2_b64 v[12:15], v29 offset0:14 offset1:41
	ds_read2_b64 v[20:23], v29 offset0:68 offset1:95
	;; [unrolled: 1-line block ×3, first 2 shown]
	ds_read_b64 v[36:37], v28 offset:3456
.LBB0_5:
	s_or_b64 exec, exec, s[0:1]
	s_mov_b32 s0, 0xbeb8f4ab
	s_waitcnt lgkmcnt(0)
	v_pk_add_f32 v[30:31], v[36:37], v[2:3]
	v_pk_add_f32 v[28:29], v[2:3], v[36:37] neg_lo:[0,1] neg_hi:[0,1]
	s_mov_b32 s1, 0x3f6eb680
	v_mov_b32_e32 v41, v31
	v_mov_b32_e32 v31, v28
	s_mov_b32 s6, s1
	s_mov_b32 s7, s0
	v_mov_b32_e32 v40, v29
	v_pk_mul_f32 v[28:29], v[30:31], s[6:7]
	s_mov_b32 s6, 0xbf2c7751
	s_mov_b32 s7, 0x3f3d2fb0
	;; [unrolled: 1-line block ×4, first 2 shown]
	v_accvgpr_write_b32 a10, v28
	v_pk_add_f32 v[42:43], v[24:25], v[34:35] neg_lo:[0,1] neg_hi:[0,1]
	v_pk_mul_f32 v[50:51], v[30:31], s[10:11]
	s_mov_b32 s10, 0xbf7ee86f
	v_pk_fma_f32 v[44:45], v[40:41], s[0:1], v[28:29]
	v_accvgpr_write_b32 a11, v29
	v_pk_fma_f32 v[28:29], v[40:41], s[0:1], v[28:29] neg_lo:[0,0,1] neg_hi:[0,0,1]
	v_pk_add_f32 v[38:39], v[34:35], v[24:25]
	v_mov_b32_e32 v64, v43
	v_mov_b32_e32 v63, v42
	s_mov_b32 s20, s7
	v_pk_mul_f32 v[42:43], v[42:43], s[6:7] op_sel:[1,0] op_sel_hi:[0,0]
	s_mov_b32 s11, 0x3dbcf732
	v_mov_b32_e32 v62, v38
	v_accvgpr_write_b32 a3, v45
	v_mov_b32_e32 v28, v44
	v_pk_fma_f32 v[44:45], v[38:39], s[20:21], v[42:43] op_sel_hi:[1,0,1]
	v_pk_fma_f32 v[70:71], v[38:39], s[20:21], v[42:43] op_sel_hi:[1,0,1] neg_lo:[0,0,1] neg_hi:[0,0,1]
	s_mov_b32 s22, s11
	s_mov_b32 s23, s10
	v_mov_b32_e32 v65, v39
	v_pk_add_f32 v[28:29], v[28:29], v[0:1]
	v_mov_b32_e32 v38, v44
	v_mov_b32_e32 v39, v71
	v_pk_mul_f32 v[42:43], v[62:63], s[22:23]
	s_mov_b32 s16, 0xbf65296c
	v_pk_fma_f32 v[46:47], v[40:41], s[6:7], v[50:51]
	v_pk_add_f32 v[28:29], v[38:39], v[28:29]
	v_pk_fma_f32 v[38:39], v[40:41], s[6:7], v[50:51] neg_lo:[0,0,1] neg_hi:[0,0,1]
	v_accvgpr_write_b32 a18, v42
	s_mov_b32 s17, 0x3ee437d1
	s_mov_b32 s14, 0xbf4c4adb
	v_accvgpr_write_b32 a5, v45
	v_mov_b32_e32 v38, v46
	v_pk_fma_f32 v[44:45], v[64:65], s[10:11], v[42:43]
	v_accvgpr_write_b32 a19, v43
	v_pk_fma_f32 v[42:43], v[64:65], s[10:11], v[42:43] neg_lo:[0,0,1] neg_hi:[0,0,1]
	s_mov_b32 s18, s17
	s_mov_b32 s19, s16
	;; [unrolled: 1-line block ×3, first 2 shown]
	v_pk_add_f32 v[38:39], v[38:39], v[0:1]
	v_mov_b32_e32 v42, v44
	s_mov_b32 s40, s15
	s_mov_b32 s41, s14
	v_pk_mul_f32 v[98:99], v[30:31], s[18:19]
	v_accvgpr_write_b32 a17, v45
	v_pk_add_f32 v[38:39], v[42:43], v[38:39]
	v_pk_fma_f32 v[44:45], v[40:41], s[16:17], v[98:99]
	v_pk_fma_f32 v[42:43], v[40:41], s[16:17], v[98:99] neg_lo:[0,0,1] neg_hi:[0,0,1]
	v_pk_mul_f32 v[102:103], v[62:63], s[40:41]
	v_mov_b32_e32 v71, v47
	v_accvgpr_write_b32 a23, v45
	v_mov_b32_e32 v42, v44
	v_pk_fma_f32 v[46:47], v[64:65], s[14:15], v[102:103]
	v_pk_fma_f32 v[44:45], v[64:65], s[14:15], v[102:103] neg_lo:[0,0,1] neg_hi:[0,0,1]
	v_pk_add_f32 v[42:43], v[42:43], v[0:1]
	v_mov_b32_e32 v44, v46
	s_mov_b32 s18, 0x3e3c28d5
	v_pk_add_f32 v[212:213], v[26:27], v[32:33] neg_lo:[0,1] neg_hi:[0,1]
	v_pk_add_f32 v[42:43], v[44:45], v[42:43]
	s_mov_b32 s28, 0xbf7ba420
	v_pk_add_f32 v[198:199], v[32:33], v[26:27]
	v_pk_mul_f32 v[44:45], v[212:213], s[18:19] op_sel_hi:[1,0]
	s_mov_b32 s18, 0xbe3c28d5
	v_pk_fma_f32 v[52:53], v[198:199], s[28:29], v[44:45] op_sel:[0,0,1] op_sel_hi:[1,0,0]
	v_pk_fma_f32 v[66:67], v[198:199], s[28:29], v[44:45] op_sel:[0,0,1] op_sel_hi:[1,0,0] neg_lo:[0,0,1] neg_hi:[0,0,1]
	s_mov_b32 s29, s18
	v_pk_mul_f32 v[116:117], v[30:31], s[22:23]
	v_accvgpr_write_b32 a12, v50
	v_accvgpr_write_b32 a25, v47
	s_mov_b32 s19, s28
	v_pk_fma_f32 v[46:47], v[40:41], s[10:11], v[116:117]
	v_pk_fma_f32 v[44:45], v[40:41], s[10:11], v[116:117] neg_lo:[0,0,1] neg_hi:[0,0,1]
	v_pk_mul_f32 v[118:119], v[62:63], s[28:29]
	v_accvgpr_write_b32 a13, v51
	v_accvgpr_write_b32 a31, v47
	v_mov_b32_e32 v44, v46
	v_pk_fma_f32 v[50:51], v[64:65], s[18:19], v[118:119]
	v_pk_fma_f32 v[46:47], v[64:65], s[18:19], v[118:119] neg_lo:[0,0,1] neg_hi:[0,0,1]
	v_pk_add_f32 v[44:45], v[44:45], v[0:1]
	v_mov_b32_e32 v46, v50
	v_pk_add_f32 v[44:45], v[46:47], v[44:45]
	s_mov_b32 s30, s17
	v_pk_mul_f32 v[46:47], v[212:213], s[16:17] op_sel_hi:[1,0]
	v_accvgpr_write_b32 a33, v51
	v_pk_fma_f32 v[50:51], v[198:199], s[30:31], v[46:47] op_sel:[0,0,1] op_sel_hi:[1,0,0]
	v_pk_fma_f32 v[88:89], v[198:199], s[30:31], v[46:47] op_sel:[0,0,1] op_sel_hi:[1,0,0] neg_lo:[0,0,1] neg_hi:[0,0,1]
	v_mov_b32_e32 v46, v50
	v_mov_b32_e32 v47, v89
	v_pk_add_f32 v[28:29], v[46:47], v[28:29]
	s_mov_b32 s36, s15
	v_pk_mul_f32 v[46:47], v[212:213], s[14:15] op_sel_hi:[1,0]
	v_accvgpr_write_b32 a21, v51
	v_pk_fma_f32 v[50:51], v[198:199], s[36:37], v[46:47] op_sel:[0,0,1] op_sel_hi:[1,0,0]
	v_pk_fma_f32 v[78:79], v[198:199], s[36:37], v[46:47] op_sel:[0,0,1] op_sel_hi:[1,0,0] neg_lo:[0,0,1] neg_hi:[0,0,1]
	v_mov_b32_e32 v46, v50
	v_mov_b32_e32 v47, v79
	v_pk_add_f32 v[38:39], v[46:47], v[38:39]
	v_mov_b32_e32 v46, v52
	v_mov_b32_e32 v47, v67
	s_mov_b32 s26, 0x3f763a35
	v_pk_add_f32 v[42:43], v[46:47], v[42:43]
	s_mov_b32 s42, 0xbe8c1d8e
	v_pk_mul_f32 v[46:47], v[212:213], s[26:27] op_sel_hi:[1,0]
	s_mov_b32 s24, 0xbf763a35
	s_mov_b32 s22, 0x3f06c442
	v_accvgpr_write_b32 a15, v51
	v_pk_fma_f32 v[50:51], v[198:199], s[42:43], v[46:47] op_sel:[0,0,1] op_sel_hi:[1,0,0]
	v_pk_fma_f32 v[72:73], v[198:199], s[42:43], v[46:47] op_sel:[0,0,1] op_sel_hi:[1,0,0] neg_lo:[0,0,1] neg_hi:[0,0,1]
	s_mov_b32 s43, s24
	s_mov_b32 s23, 0xbf59a7d5
	v_mov_b32_e32 v46, v50
	v_mov_b32_e32 v47, v73
	s_mov_b32 s25, s42
	s_mov_b32 s34, s23
	;; [unrolled: 1-line block ×3, first 2 shown]
	v_pk_mul_f32 v[148:149], v[30:31], s[42:43]
	v_mov_b32_e32 v67, v51
	v_pk_add_f32 v[44:45], v[46:47], v[44:45]
	v_pk_fma_f32 v[50:51], v[40:41], s[24:25], v[148:149]
	v_pk_fma_f32 v[46:47], v[40:41], s[24:25], v[148:149] neg_lo:[0,0,1] neg_hi:[0,0,1]
	v_pk_mul_f32 v[150:151], v[62:63], s[34:35]
	v_mov_b32_e32 v79, v53
	v_mov_b32_e32 v73, v51
	;; [unrolled: 1-line block ×3, first 2 shown]
	v_pk_fma_f32 v[52:53], v[64:65], s[22:23], v[150:151]
	v_pk_fma_f32 v[50:51], v[64:65], s[22:23], v[150:151] neg_lo:[0,0,1] neg_hi:[0,0,1]
	v_pk_add_f32 v[46:47], v[46:47], v[0:1]
	v_mov_b32_e32 v50, v52
	s_mov_b32 s44, 0x3f2c7751
	v_pk_add_f32 v[46:47], v[50:51], v[46:47]
	v_pk_mul_f32 v[50:51], v[212:213], s[44:45] op_sel_hi:[1,0]
	v_mov_b32_e32 v89, v53
	v_pk_fma_f32 v[52:53], v[198:199], s[20:21], v[50:51] op_sel:[0,0,1] op_sel_hi:[1,0,0]
	v_pk_fma_f32 v[74:75], v[198:199], s[20:21], v[50:51] op_sel:[0,0,1] op_sel_hi:[1,0,0] neg_lo:[0,0,1] neg_hi:[0,0,1]
	v_mov_b32_e32 v50, v52
	v_mov_b32_e32 v51, v75
	v_pk_add_f32 v[254:255], v[16:17], v[22:23] neg_lo:[0,1] neg_hi:[0,1]
	v_pk_add_f32 v[46:47], v[50:51], v[46:47]
	s_mov_b32 s38, s11
	v_pk_add_f32 v[248:249], v[22:23], v[16:17]
	v_pk_mul_f32 v[50:51], v[254:255], s[10:11] op_sel:[1,0] op_sel_hi:[0,0]
	v_accvgpr_write_b32 a41, v53
	v_pk_fma_f32 v[52:53], v[248:249], s[38:39], v[50:51] op_sel_hi:[1,0,1]
	v_pk_fma_f32 v[126:127], v[248:249], s[38:39], v[50:51] op_sel_hi:[1,0,1] neg_lo:[0,0,1] neg_hi:[0,0,1]
	v_mov_b32_e32 v50, v52
	v_mov_b32_e32 v51, v127
	v_pk_add_f32 v[28:29], v[50:51], v[28:29]
	v_pk_mul_f32 v[50:51], v[254:255], s[18:19] op_sel:[1,0] op_sel_hi:[0,0]
	v_accvgpr_write_b32 a35, v53
	v_pk_fma_f32 v[52:53], v[248:249], s[28:29], v[50:51] op_sel_hi:[1,0,1]
	v_pk_fma_f32 v[112:113], v[248:249], s[28:29], v[50:51] op_sel_hi:[1,0,1] neg_lo:[0,0,1] neg_hi:[0,0,1]
	v_mov_b32_e32 v50, v52
	v_mov_b32_e32 v51, v113
	s_mov_b32 s27, s42
	v_pk_add_f32 v[38:39], v[50:51], v[38:39]
	s_mov_b32 s43, s26
	v_pk_mul_f32 v[50:51], v[254:255], s[26:27] op_sel:[1,0] op_sel_hi:[0,0]
	v_accvgpr_write_b32 a29, v53
	v_pk_fma_f32 v[52:53], v[248:249], s[42:43], v[50:51] op_sel_hi:[1,0,1]
	v_pk_fma_f32 v[108:109], v[248:249], s[42:43], v[50:51] op_sel_hi:[1,0,1] neg_lo:[0,0,1] neg_hi:[0,0,1]
	v_mov_b32_e32 v50, v52
	v_mov_b32_e32 v51, v109
	s_mov_b32 s34, 0x3eb8f4ab
	v_pk_add_f32 v[42:43], v[50:51], v[42:43]
	s_mov_b32 s52, s1
	v_pk_mul_f32 v[50:51], v[254:255], s[34:35] op_sel:[1,0] op_sel_hi:[0,0]
	v_accvgpr_write_b32 a27, v53
	v_pk_fma_f32 v[52:53], v[248:249], s[52:53], v[50:51] op_sel_hi:[1,0,1]
	v_pk_fma_f32 v[92:93], v[248:249], s[52:53], v[50:51] op_sel_hi:[1,0,1] neg_lo:[0,0,1] neg_hi:[0,0,1]
	v_mov_b32_e32 v50, v52
	v_mov_b32_e32 v51, v93
	v_pk_add_f32 v[44:45], v[50:51], v[44:45]
	v_pk_mul_f32 v[50:51], v[254:255], s[16:17] op_sel:[1,0] op_sel_hi:[0,0]
	v_mov_b32_e32 v127, v53
	v_pk_fma_f32 v[52:53], v[248:249], s[30:31], v[50:51] op_sel_hi:[1,0,1]
	v_pk_fma_f32 v[84:85], v[248:249], s[30:31], v[50:51] op_sel_hi:[1,0,1] neg_lo:[0,0,1] neg_hi:[0,0,1]
	v_mov_b32_e32 v50, v52
	v_mov_b32_e32 v51, v85
	v_pk_mul_f32 v[192:193], v[30:31], s[40:41]
	v_pk_add_f32 v[46:47], v[50:51], v[46:47]
	v_pk_fma_f32 v[186:187], v[40:41], s[14:15], v[192:193]
	v_pk_fma_f32 v[50:51], v[40:41], s[14:15], v[192:193] neg_lo:[0,0,1] neg_hi:[0,0,1]
	v_pk_mul_f32 v[194:195], v[62:63], s[42:43]
	v_mov_b32_e32 v93, v53
	v_mov_b32_e32 v50, v186
	v_pk_fma_f32 v[196:197], v[64:65], s[26:27], v[194:195]
	v_pk_fma_f32 v[52:53], v[64:65], s[26:27], v[194:195] neg_lo:[0,0,1] neg_hi:[0,0,1]
	v_pk_add_f32 v[50:51], v[50:51], v[0:1]
	v_mov_b32_e32 v52, v196
	v_pk_add_f32 v[50:51], v[52:53], v[50:51]
	v_pk_mul_f32 v[52:53], v[212:213], s[0:1] op_sel_hi:[1,0]
	s_mov_b32 s40, 0xbf06c442
	v_pk_fma_f32 v[208:209], v[198:199], s[52:53], v[52:53] op_sel:[0,0,1] op_sel_hi:[1,0,0]
	v_pk_fma_f32 v[90:91], v[198:199], s[52:53], v[52:53] op_sel:[0,0,1] op_sel_hi:[1,0,0] neg_lo:[0,0,1] neg_hi:[0,0,1]
	v_mov_b32_e32 v52, v208
	v_mov_b32_e32 v53, v91
	v_pk_add_f32 v[50:51], v[52:53], v[50:51]
	s_mov_b32 s50, s23
	v_pk_mul_f32 v[52:53], v[254:255], s[40:41] op_sel:[1,0] op_sel_hi:[0,0]
	v_pk_fma_f32 v[210:211], v[248:249], s[50:51], v[52:53] op_sel_hi:[1,0,1]
	v_pk_fma_f32 v[94:95], v[248:249], s[50:51], v[52:53] op_sel_hi:[1,0,1] neg_lo:[0,0,1] neg_hi:[0,0,1]
	v_mov_b32_e32 v52, v210
	v_mov_b32_e32 v53, v95
	v_pk_add_f32 v[58:59], v[18:19], v[20:21] neg_lo:[0,1] neg_hi:[0,1]
	v_pk_add_f32 v[50:51], v[52:53], v[50:51]
	v_pk_add_f32 v[86:87], v[20:21], v[18:19]
	v_pk_mul_f32 v[52:53], v[58:59], s[24:25] op_sel:[1,0] op_sel_hi:[0,0]
	v_pk_fma_f32 v[54:55], v[86:87], s[42:43], v[52:53] op_sel_hi:[1,0,1]
	v_pk_fma_f32 v[162:163], v[86:87], s[42:43], v[52:53] op_sel_hi:[1,0,1] neg_lo:[0,0,1] neg_hi:[0,0,1]
	v_mov_b32_e32 v52, v54
	v_mov_b32_e32 v53, v163
	v_pk_add_f32 v[28:29], v[52:53], v[28:29]
	v_pk_mul_f32 v[52:53], v[58:59], s[22:23] op_sel:[1,0] op_sel_hi:[0,0]
	v_mov_b32_e32 v113, v55
	v_pk_fma_f32 v[54:55], v[86:87], s[50:51], v[52:53] op_sel_hi:[1,0,1]
	v_pk_fma_f32 v[156:157], v[86:87], s[50:51], v[52:53] op_sel_hi:[1,0,1] neg_lo:[0,0,1] neg_hi:[0,0,1]
	v_mov_b32_e32 v52, v54
	v_mov_b32_e32 v53, v157
	v_pk_add_f32 v[38:39], v[52:53], v[38:39]
	v_pk_mul_f32 v[52:53], v[58:59], s[44:45] op_sel:[1,0] op_sel_hi:[0,0]
	v_mov_b32_e32 v109, v55
	v_pk_fma_f32 v[54:55], v[86:87], s[20:21], v[52:53] op_sel_hi:[1,0,1]
	v_pk_fma_f32 v[144:145], v[86:87], s[20:21], v[52:53] op_sel_hi:[1,0,1] neg_lo:[0,0,1] neg_hi:[0,0,1]
	v_mov_b32_e32 v52, v54
	v_mov_b32_e32 v53, v145
	v_pk_add_f32 v[52:53], v[52:53], v[42:43]
	v_pk_mul_f32 v[42:43], v[58:59], s[16:17] op_sel:[1,0] op_sel_hi:[0,0]
	v_accvgpr_write_b32 a39, v55
	v_pk_fma_f32 v[54:55], v[86:87], s[30:31], v[42:43] op_sel_hi:[1,0,1]
	v_pk_fma_f32 v[134:135], v[86:87], s[30:31], v[42:43] op_sel_hi:[1,0,1] neg_lo:[0,0,1] neg_hi:[0,0,1]
	v_mov_b32_e32 v42, v54
	v_mov_b32_e32 v43, v135
	v_pk_add_f32 v[44:45], v[42:43], v[44:45]
	v_pk_mul_f32 v[42:43], v[58:59], s[18:19] op_sel:[1,0] op_sel_hi:[0,0]
	v_pk_fma_f32 v[226:227], v[86:87], s[28:29], v[42:43] op_sel_hi:[1,0,1]
	v_pk_fma_f32 v[128:129], v[86:87], s[28:29], v[42:43] op_sel_hi:[1,0,1] neg_lo:[0,0,1] neg_hi:[0,0,1]
	v_mov_b32_e32 v42, v226
	v_mov_b32_e32 v43, v129
	s_mov_b32 s48, 0x3f7ee86f
	v_accvgpr_write_b32 a37, v55
	v_pk_add_f32 v[54:55], v[42:43], v[46:47]
	v_pk_mul_f32 v[42:43], v[58:59], s[48:49] op_sel:[1,0] op_sel_hi:[0,0]
	v_pk_fma_f32 v[246:247], v[86:87], s[38:39], v[42:43] op_sel_hi:[1,0,1]
	v_pk_fma_f32 v[122:123], v[86:87], s[38:39], v[42:43] op_sel_hi:[1,0,1] neg_lo:[0,0,1] neg_hi:[0,0,1]
	s_mov_b32 s54, s23
	s_mov_b32 s55, s40
	;; [unrolled: 1-line block ×3, first 2 shown]
	v_mov_b32_e32 v42, v246
	v_mov_b32_e32 v43, v123
	s_mov_b32 s41, s23
	s_mov_b32 s56, s17
	;; [unrolled: 1-line block ×3, first 2 shown]
	v_pk_mul_f32 v[100:101], v[30:31], s[54:55]
	v_pk_add_f32 v[50:51], v[42:43], v[50:51]
	s_mov_b32 s47, s17
	v_pk_fma_f32 v[96:97], v[40:41], s[40:41], v[100:101]
	v_pk_fma_f32 v[42:43], v[40:41], s[40:41], v[100:101] neg_lo:[0,0,1] neg_hi:[0,0,1]
	v_pk_mul_f32 v[104:105], v[62:63], s[56:57]
	v_mov_b32_e32 v42, v96
	v_pk_fma_f32 v[106:107], v[64:65], s[46:47], v[104:105]
	v_pk_fma_f32 v[46:47], v[64:65], s[46:47], v[104:105] neg_lo:[0,0,1] neg_hi:[0,0,1]
	v_pk_add_f32 v[42:43], v[42:43], v[0:1]
	v_mov_b32_e32 v46, v106
	v_pk_mul_f32 v[56:57], v[212:213], s[10:11] op_sel_hi:[1,0]
	v_pk_add_f32 v[46:47], v[46:47], v[42:43]
	v_pk_fma_f32 v[42:43], v[198:199], s[38:39], v[56:57] op_sel:[0,0,1] op_sel_hi:[1,0,0]
	v_pk_fma_f32 v[136:137], v[198:199], s[38:39], v[56:57] op_sel:[0,0,1] op_sel_hi:[1,0,0] neg_lo:[0,0,1] neg_hi:[0,0,1]
	v_mov_b32_e32 v56, v42
	v_mov_b32_e32 v57, v137
	s_mov_b32 s54, 0x3f4c4adb
	v_pk_add_f32 v[46:47], v[56:57], v[46:47]
	v_pk_mul_f32 v[56:57], v[254:255], s[54:55] op_sel:[1,0] op_sel_hi:[0,0]
	v_pk_fma_f32 v[110:111], v[248:249], s[36:37], v[56:57] op_sel_hi:[1,0,1]
	v_pk_fma_f32 v[138:139], v[248:249], s[36:37], v[56:57] op_sel_hi:[1,0,1] neg_lo:[0,0,1] neg_hi:[0,0,1]
	v_mov_b32_e32 v56, v110
	v_mov_b32_e32 v57, v139
	v_pk_mul_f32 v[60:61], v[58:59], s[0:1] op_sel:[1,0] op_sel_hi:[0,0]
	v_pk_add_f32 v[56:57], v[56:57], v[46:47]
	v_pk_fma_f32 v[46:47], v[86:87], s[52:53], v[60:61] op_sel_hi:[1,0,1]
	v_pk_fma_f32 v[140:141], v[86:87], s[52:53], v[60:61] op_sel_hi:[1,0,1] neg_lo:[0,0,1] neg_hi:[0,0,1]
	v_mov_b32_e32 v60, v46
	v_mov_b32_e32 v61, v141
	v_pk_add_f32 v[114:115], v[8:9], v[14:15] neg_lo:[0,1] neg_hi:[0,1]
	v_pk_add_f32 v[56:57], v[60:61], v[56:57]
	v_pk_add_f32 v[60:61], v[14:15], v[8:9]
	v_pk_mul_f32 v[68:69], v[114:115], s[14:15] op_sel:[1,0] op_sel_hi:[0,0]
	v_pk_fma_f32 v[218:219], v[60:61], s[36:37], v[68:69] op_sel_hi:[1,0,1]
	v_pk_fma_f32 v[220:221], v[60:61], s[36:37], v[68:69] op_sel_hi:[1,0,1] neg_lo:[0,0,1] neg_hi:[0,0,1]
	v_mov_b32_e32 v68, v218
	v_mov_b32_e32 v69, v221
	v_pk_add_f32 v[28:29], v[68:69], v[28:29]
	v_pk_mul_f32 v[68:69], v[114:115], s[26:27] op_sel:[1,0] op_sel_hi:[0,0]
	v_pk_fma_f32 v[200:201], v[60:61], s[42:43], v[68:69] op_sel_hi:[1,0,1]
	v_pk_fma_f32 v[202:203], v[60:61], s[42:43], v[68:69] op_sel_hi:[1,0,1] neg_lo:[0,0,1] neg_hi:[0,0,1]
	v_mov_b32_e32 v68, v200
	v_mov_b32_e32 v69, v203
	;; [unrolled: 6-line block ×7, first 2 shown]
	v_pk_add_f32 v[142:143], v[10:11], v[12:13] neg_lo:[0,1] neg_hi:[0,1]
	v_pk_add_f32 v[56:57], v[38:39], v[56:57]
	v_pk_add_f32 v[120:121], v[12:13], v[10:11]
	v_pk_mul_f32 v[38:39], v[142:143], s[40:41] op_sel:[1,0] op_sel_hi:[0,0]
	v_accvgpr_write_b32 a43, v45
	v_pk_fma_f32 v[44:45], v[120:121], s[50:51], v[38:39] op_sel_hi:[1,0,1]
	v_pk_fma_f32 v[38:39], v[120:121], s[50:51], v[38:39] op_sel_hi:[1,0,1] neg_lo:[0,0,1] neg_hi:[0,0,1]
	v_mov_b32_e32 v80, v44
	v_mov_b32_e32 v81, v39
	v_pk_add_f32 v[158:159], v[80:81], v[28:29]
	v_pk_mul_f32 v[28:29], v[142:143], s[46:47] op_sel:[1,0] op_sel_hi:[0,0]
	v_pk_fma_f32 v[238:239], v[120:121], s[30:31], v[28:29] op_sel_hi:[1,0,1]
	v_pk_fma_f32 v[244:245], v[120:121], s[30:31], v[28:29] op_sel_hi:[1,0,1] neg_lo:[0,0,1] neg_hi:[0,0,1]
	v_mov_b32_e32 v28, v238
	v_mov_b32_e32 v29, v245
	v_pk_add_f32 v[28:29], v[28:29], v[68:69]
	v_pk_mul_f32 v[68:69], v[142:143], s[10:11] op_sel:[1,0] op_sel_hi:[0,0]
	;; [unrolled: 6-line block ×6, first 2 shown]
	v_pk_fma_f32 v[132:133], v[120:121], s[20:21], v[50:51] op_sel_hi:[1,0,1]
	v_pk_fma_f32 v[180:181], v[120:121], s[20:21], v[50:51] op_sel_hi:[1,0,1] neg_lo:[0,0,1] neg_hi:[0,0,1]
	v_mov_b32_e32 v50, v132
	v_mov_b32_e32 v51, v181
	v_pk_add_f32 v[160:161], v[4:5], v[6:7] neg_lo:[0,1] neg_hi:[0,1]
	v_pk_add_f32 v[56:57], v[50:51], v[56:57]
	v_pk_add_f32 v[154:155], v[6:7], v[4:5]
	v_pk_mul_f32 v[50:51], v[160:161], s[34:35] op_sel:[1,0] op_sel_hi:[0,0]
	v_pk_fma_f32 v[80:81], v[154:155], s[52:53], v[50:51] op_sel_hi:[1,0,1]
	v_pk_fma_f32 v[76:77], v[154:155], s[52:53], v[50:51] op_sel_hi:[1,0,1] neg_lo:[0,0,1] neg_hi:[0,0,1]
	v_mov_b32_e32 v50, v80
	v_mov_b32_e32 v51, v77
	v_pk_add_f32 v[82:83], v[50:51], v[28:29]
	v_pk_mul_f32 v[28:29], v[160:161], s[40:41] op_sel:[1,0] op_sel_hi:[0,0]
	v_pk_fma_f32 v[50:51], v[154:155], s[50:51], v[28:29] op_sel_hi:[1,0,1]
	v_pk_fma_f32 v[68:69], v[154:155], s[50:51], v[28:29] op_sel_hi:[1,0,1] neg_lo:[0,0,1] neg_hi:[0,0,1]
	v_mov_b32_e32 v28, v50
	v_mov_b32_e32 v29, v69
	;; [unrolled: 6-line block ×5, first 2 shown]
	v_pk_add_f32 v[28:29], v[28:29], v[152:153]
	s_mov_b32 s35, s1
	v_accvgpr_write_b32 a6, v28
	v_accvgpr_write_b32 a7, v29
	v_pk_mul_f32 v[28:29], v[160:161], s[24:25] op_sel:[1,0] op_sel_hi:[0,0]
	v_pk_fma_f32 v[222:223], v[154:155], s[42:43], v[28:29] op_sel_hi:[1,0,1]
	v_pk_fma_f32 v[224:225], v[154:155], s[42:43], v[28:29] op_sel_hi:[1,0,1] neg_lo:[0,0,1] neg_hi:[0,0,1]
	v_mov_b32_e32 v28, v222
	v_mov_b32_e32 v29, v225
	v_pk_add_f32 v[28:29], v[28:29], v[56:57]
	v_accvgpr_read_b32 v132, a4
	v_accvgpr_write_b32 a8, v28
	v_accvgpr_write_b32 a9, v29
	v_pk_mul_f32 v[28:29], v[142:143], s[24:25] op_sel:[1,0] op_sel_hi:[0,0]
	v_pk_fma_f32 v[228:229], v[120:121], s[42:43], v[28:29] op_sel_hi:[1,0,1]
	v_pk_fma_f32 v[52:53], v[120:121], s[42:43], v[28:29] op_sel_hi:[1,0,1] neg_lo:[0,0,1] neg_hi:[0,0,1]
	v_pk_mul_f32 v[28:29], v[212:213], s[40:41] op_sel_hi:[1,0]
	v_mul_lo_u16_e32 v50, 17, v132
	v_pk_fma_f32 v[54:55], v[198:199], s[50:51], v[28:29] op_sel:[0,0,1] op_sel_hi:[1,0,0]
	v_pk_fma_f32 v[198:199], v[198:199], s[50:51], v[28:29] op_sel:[0,0,1] op_sel_hi:[1,0,0] neg_lo:[0,0,1] neg_hi:[0,0,1]
	v_pk_mul_f32 v[28:29], v[254:255], s[44:45] op_sel:[1,0] op_sel_hi:[0,0]
	v_pk_fma_f32 v[212:213], v[248:249], s[20:21], v[28:29] op_sel_hi:[1,0,1]
	v_pk_fma_f32 v[56:57], v[248:249], s[20:21], v[28:29] op_sel_hi:[1,0,1] neg_lo:[0,0,1] neg_hi:[0,0,1]
	v_pk_mul_f32 v[28:29], v[58:59], s[14:15] op_sel:[1,0] op_sel_hi:[0,0]
	v_pk_fma_f32 v[248:249], v[86:87], s[36:37], v[28:29] op_sel_hi:[1,0,1]
	v_pk_fma_f32 v[58:59], v[86:87], s[36:37], v[28:29] op_sel_hi:[1,0,1] neg_lo:[0,0,1] neg_hi:[0,0,1]
	v_pk_mul_f32 v[28:29], v[114:115], s[46:47] op_sel:[1,0] op_sel_hi:[0,0]
	v_pk_mul_f32 v[114:115], v[30:31], s[28:29]
	s_mov_b32 s20, s1
	s_mov_b32 s21, s34
	v_pk_fma_f32 v[254:255], v[60:61], s[30:31], v[28:29] op_sel_hi:[1,0,1]
	v_pk_fma_f32 v[60:61], v[60:61], s[30:31], v[28:29] op_sel_hi:[1,0,1] neg_lo:[0,0,1] neg_hi:[0,0,1]
	v_pk_mul_f32 v[120:121], v[62:63], s[20:21]
	v_pk_fma_f32 v[152:153], v[40:41], s[18:19], v[114:115]
	v_pk_fma_f32 v[28:29], v[40:41], s[18:19], v[114:115] neg_lo:[0,0,1] neg_hi:[0,0,1]
	v_pk_fma_f32 v[146:147], v[64:65], s[34:35], v[120:121]
	v_mov_b32_e32 v28, v152
	v_pk_fma_f32 v[30:31], v[64:65], s[34:35], v[120:121] neg_lo:[0,0,1] neg_hi:[0,0,1]
	v_pk_add_f32 v[28:29], v[28:29], v[0:1]
	v_mov_b32_e32 v30, v146
	v_pk_add_f32 v[28:29], v[30:31], v[28:29]
	v_mov_b32_e32 v30, v54
	v_mov_b32_e32 v31, v199
	v_pk_add_f32 v[28:29], v[30:31], v[28:29]
	v_mov_b32_e32 v30, v212
	;; [unrolled: 3-line block ×5, first 2 shown]
	v_mov_b32_e32 v31, v53
	v_pk_mul_f32 v[62:63], v[160:161], s[18:19] op_sel:[1,0] op_sel_hi:[0,0]
	v_pk_add_f32 v[30:31], v[30:31], v[28:29]
	v_pk_fma_f32 v[28:29], v[154:155], s[28:29], v[62:63] op_sel_hi:[1,0,1]
	v_pk_fma_f32 v[142:143], v[154:155], s[28:29], v[62:63] op_sel_hi:[1,0,1] neg_lo:[0,0,1] neg_hi:[0,0,1]
	v_pk_mul_f32 v[62:63], v[160:161], s[48:49] op_sel:[1,0] op_sel_hi:[0,0]
	v_pk_fma_f32 v[86:87], v[154:155], s[38:39], v[62:63] op_sel_hi:[1,0,1]
	v_pk_fma_f32 v[154:155], v[154:155], s[38:39], v[62:63] op_sel_hi:[1,0,1] neg_lo:[0,0,1] neg_hi:[0,0,1]
	v_mov_b32_e32 v62, v86
	v_mov_b32_e32 v63, v155
	v_pk_add_f32 v[62:63], v[62:63], v[30:31]
	v_mov_b32_e32 v30, v28
	v_mov_b32_e32 v31, v143
	v_mov_b64_e32 v[160:161], v[82:83]
	v_pk_add_f32 v[30:31], v[30:31], v[158:159]
	s_barrier
	s_and_saveexec_b64 s[20:21], vcc
	s_cbranch_execz .LBB0_7
; %bb.6:
	v_mov_b32_e32 v199, v55
	v_pk_mul_f32 v[54:55], v[40:41], s[40:41]
	v_mov_b32_e32 v139, v111
	v_pk_mul_f32 v[110:111], v[40:41], s[16:17]
	v_mov_b32_e32 v155, v87
	v_pk_add_f32 v[54:55], v[100:101], v[54:55] neg_lo:[0,1] neg_hi:[0,1]
	v_pk_mul_f32 v[86:87], v[64:65], s[46:47]
	v_pk_add_f32 v[98:99], v[98:99], v[110:111] neg_lo:[0,1] neg_hi:[0,1]
	v_pk_mul_f32 v[110:111], v[64:65], s[14:15]
	v_accvgpr_read_b32 v83, a13
	v_pk_add_f32 v[2:3], v[2:3], v[0:1]
	v_pk_mul_f32 v[158:159], v[40:41], s[18:19]
	v_mov_b32_e32 v55, v97
	v_pk_add_f32 v[86:87], v[104:105], v[86:87] neg_lo:[0,1] neg_hi:[0,1]
	v_mov_b32_e32 v137, v43
	v_pk_mul_f32 v[42:43], v[40:41], s[14:15]
	v_pk_mul_f32 v[96:97], v[40:41], s[24:25]
	;; [unrolled: 1-line block ×3, first 2 shown]
	v_pk_add_f32 v[102:103], v[102:103], v[110:111] neg_lo:[0,1] neg_hi:[0,1]
	v_pk_mul_f32 v[110:111], v[40:41], s[0:1]
	v_pk_mul_f32 v[40:41], v[40:41], s[6:7]
	v_accvgpr_read_b32 v82, a12
	v_pk_add_f32 v[2:3], v[24:25], v[2:3]
	v_pk_add_f32 v[114:115], v[114:115], v[158:159] neg_lo:[0,1] neg_hi:[0,1]
	v_pk_add_f32 v[40:41], v[82:83], v[40:41] neg_lo:[0,1] neg_hi:[0,1]
	v_accvgpr_read_b32 v83, a19
	v_pk_add_f32 v[2:3], v[26:27], v[2:3]
	v_mov_b32_e32 v115, v153
	v_pk_mul_f32 v[152:153], v[64:65], s[34:35]
	v_mov_b32_e32 v87, v107
	v_mov_b32_e32 v141, v47
	v_pk_mul_f32 v[46:47], v[64:65], s[26:27]
	v_pk_mul_f32 v[100:101], v[64:65], s[22:23]
	;; [unrolled: 1-line block ×4, first 2 shown]
	v_accvgpr_read_b32 v82, a18
	v_pk_add_f32 v[2:3], v[16:17], v[2:3]
	v_pk_add_f32 v[64:65], v[82:83], v[64:65] neg_lo:[0,1] neg_hi:[0,1]
	v_accvgpr_read_b32 v83, a11
	v_pk_add_f32 v[2:3], v[18:19], v[2:3]
	v_accvgpr_read_b32 v82, a10
	v_pk_add_f32 v[2:3], v[8:9], v[2:3]
	v_pk_add_f32 v[82:83], v[82:83], v[110:111] neg_lo:[0,1] neg_hi:[0,1]
	v_pk_add_f32 v[2:3], v[10:11], v[2:3]
	v_accvgpr_read_b32 v83, a3
	v_pk_add_f32 v[2:3], v[4:5], v[2:3]
	v_pk_add_f32 v[100:101], v[150:151], v[100:101] neg_lo:[0,1] neg_hi:[0,1]
	v_mov_b32_e32 v41, v71
	v_pk_add_f32 v[2:3], v[6:7], v[2:3]
	v_pk_add_f32 v[4:5], v[82:83], v[0:1]
	v_accvgpr_read_b32 v71, a5
	v_mov_b32_e32 v101, v89
	v_pk_add_f32 v[2:3], v[12:13], v[2:3]
	v_pk_add_f32 v[4:5], v[70:71], v[4:5]
	v_accvgpr_read_b32 v89, a21
	v_mov_b32_e32 v85, v93
	v_mov_b32_e32 v93, v127
	v_pk_add_f32 v[2:3], v[14:15], v[2:3]
	v_pk_add_f32 v[4:5], v[88:89], v[4:5]
	v_accvgpr_read_b32 v127, a35
	v_pk_add_f32 v[2:3], v[20:21], v[2:3]
	v_pk_add_f32 v[4:5], v[126:127], v[4:5]
	v_mov_b32_e32 v163, v113
	v_pk_add_f32 v[2:3], v[22:23], v[2:3]
	v_pk_add_f32 v[4:5], v[162:163], v[4:5]
	v_mov_b32_e32 v221, v219
	;; [unrolled: 3-line block ×4, first 2 shown]
	v_accvgpr_read_b32 v99, a23
	v_add_lshl_u32 v16, v49, v50, 3
	v_pk_add_f32 v[2:3], v[36:37], v[2:3]
	v_pk_add_f32 v[4:5], v[142:143], v[4:5]
	v_pk_add_f32 v[96:97], v[148:149], v[96:97] neg_lo:[0,1] neg_hi:[0,1]
	v_accvgpr_read_b32 v103, a25
	v_accvgpr_read_b32 v65, a17
	ds_write2_b64 v16, v[2:3], v[4:5] offset1:1
	v_pk_add_f32 v[2:3], v[40:41], v[0:1]
	v_pk_add_f32 v[4:5], v[98:99], v[0:1]
	v_mov_b32_e32 v97, v73
	v_mov_b32_e32 v73, v67
	;; [unrolled: 1-line block ×3, first 2 shown]
	v_pk_add_f32 v[2:3], v[64:65], v[2:3]
	v_accvgpr_read_b32 v79, a15
	v_pk_add_f32 v[4:5], v[102:103], v[4:5]
	v_pk_add_f32 v[2:3], v[78:79], v[2:3]
	v_accvgpr_read_b32 v113, a29
	v_mov_b32_e32 v157, v109
	v_pk_add_f32 v[4:5], v[66:67], v[4:5]
	v_accvgpr_read_b32 v109, a27
	v_pk_add_f32 v[2:3], v[112:113], v[2:3]
	v_pk_add_f32 v[4:5], v[108:109], v[4:5]
	v_accvgpr_read_b32 v145, a39
	v_pk_add_f32 v[2:3], v[156:157], v[2:3]
	v_mov_b32_e32 v203, v201
	v_pk_add_f32 v[4:5], v[144:145], v[4:5]
	v_mov_b32_e32 v185, v183
	;; [unrolled: 2-line block ×4, first 2 shown]
	v_pk_add_f32 v[104:105], v[116:117], v[104:105] neg_lo:[0,1] neg_hi:[0,1]
	v_pk_add_f32 v[2:3], v[244:245], v[2:3]
	v_mov_b32_e32 v77, v81
	v_pk_add_f32 v[4:5], v[232:233], v[4:5]
	v_mov_b32_e32 v69, v51
	v_accvgpr_read_b32 v105, a31
	v_pk_add_f32 v[106:107], v[118:119], v[106:107] neg_lo:[0,1] neg_hi:[0,1]
	v_pk_add_f32 v[2:3], v[76:77], v[2:3]
	v_pk_add_f32 v[4:5], v[68:69], v[4:5]
	v_accvgpr_read_b32 v107, a33
	ds_write2_b64 v16, v[2:3], v[4:5] offset0:2 offset1:3
	v_pk_add_f32 v[2:3], v[104:105], v[0:1]
	v_pk_add_f32 v[4:5], v[96:97], v[0:1]
	v_accvgpr_read_b32 v75, a41
	v_pk_add_f32 v[2:3], v[106:107], v[2:3]
	v_pk_add_f32 v[4:5], v[100:101], v[4:5]
	;; [unrolled: 1-line block ×4, first 2 shown]
	v_mov_b32_e32 v129, v227
	v_pk_add_f32 v[2:3], v[92:93], v[2:3]
	v_accvgpr_read_b32 v135, a37
	v_pk_add_f32 v[4:5], v[84:85], v[4:5]
	v_pk_add_f32 v[2:3], v[134:135], v[2:3]
	v_mov_b32_e32 v179, v177
	v_pk_add_f32 v[4:5], v[128:129], v[4:5]
	v_accvgpr_read_b32 v175, a43
	v_pk_add_f32 v[2:3], v[178:179], v[2:3]
	v_mov_b32_e32 v217, v215
	v_pk_add_f32 v[4:5], v[174:175], v[4:5]
	v_mov_b32_e32 v207, v205
	v_pk_add_f32 v[42:43], v[192:193], v[42:43] neg_lo:[0,1] neg_hi:[0,1]
	v_pk_add_f32 v[2:3], v[216:217], v[2:3]
	v_mov_b32_e32 v253, v251
	v_pk_add_f32 v[4:5], v[206:207], v[4:5]
	v_mov_b32_e32 v243, v241
	v_pk_add_f32 v[120:121], v[120:121], v[152:153] neg_lo:[0,1] neg_hi:[0,1]
	v_mov_b32_e32 v43, v187
	v_pk_add_f32 v[46:47], v[194:195], v[46:47] neg_lo:[0,1] neg_hi:[0,1]
	v_pk_add_f32 v[2:3], v[252:253], v[2:3]
	v_pk_add_f32 v[4:5], v[242:243], v[4:5]
	v_mov_b32_e32 v121, v147
	v_mov_b32_e32 v47, v197
	ds_write2_b64 v16, v[2:3], v[4:5] offset0:4 offset1:5
	v_pk_add_f32 v[2:3], v[42:43], v[0:1]
	v_pk_add_f32 v[4:5], v[54:55], v[0:1]
	;; [unrolled: 1-line block ×3, first 2 shown]
	v_mov_b32_e32 v91, v209
	v_pk_add_f32 v[2:3], v[46:47], v[2:3]
	v_pk_add_f32 v[4:5], v[86:87], v[4:5]
	v_pk_add_f32 v[0:1], v[120:121], v[0:1]
	v_mov_b32_e32 v57, v213
	v_mov_b32_e32 v95, v211
	v_pk_add_f32 v[2:3], v[90:91], v[2:3]
	v_pk_add_f32 v[4:5], v[136:137], v[4:5]
	v_pk_add_f32 v[0:1], v[198:199], v[0:1]
	v_mov_b32_e32 v59, v249
	;; [unrolled: 5-line block ×3, first 2 shown]
	v_mov_b32_e32 v167, v131
	v_mov_b32_e32 v169, v125
	v_pk_add_f32 v[2:3], v[122:123], v[2:3]
	v_pk_add_f32 v[4:5], v[140:141], v[4:5]
	;; [unrolled: 1-line block ×3, first 2 shown]
	v_mov_b32_e32 v53, v229
	v_mov_b32_e32 v181, v133
	v_pk_add_f32 v[2:3], v[168:169], v[2:3]
	v_mov_b32_e32 v191, v189
	v_pk_add_f32 v[4:5], v[166:167], v[4:5]
	v_pk_add_f32 v[0:1], v[60:61], v[0:1]
	;; [unrolled: 1-line block ×3, first 2 shown]
	v_mov_b32_e32 v237, v235
	v_pk_add_f32 v[4:5], v[180:181], v[4:5]
	v_mov_b32_e32 v225, v223
	v_pk_add_f32 v[0:1], v[52:53], v[0:1]
	v_pk_add_f32 v[2:3], v[236:237], v[2:3]
	;; [unrolled: 1-line block ×4, first 2 shown]
	ds_write2_b64 v16, v[2:3], v[4:5] offset0:6 offset1:7
	ds_write2_b64 v16, v[0:1], v[62:63] offset0:8 offset1:9
	v_accvgpr_read_b32 v0, a6
	v_accvgpr_read_b32 v2, a8
	v_accvgpr_read_b32 v1, a7
	v_accvgpr_read_b32 v3, a9
	ds_write2_b64 v16, v[2:3], v[0:1] offset0:10 offset1:11
	ds_write2_b64 v16, v[172:173], v[170:171] offset0:12 offset1:13
	;; [unrolled: 1-line block ×3, first 2 shown]
	ds_write_b64 v16, v[30:31] offset:128
.LBB0_7:
	s_or_b64 exec, exec, s[20:21]
	s_movk_i32 s6, 0xf1
	v_add_u16_e32 v2, 0x66, v132
	v_mul_lo_u16_sdwa v3, v2, s6 dst_sel:DWORD dst_unused:UNUSED_PAD src0_sel:BYTE_0 src1_sel:DWORD
	v_lshrrev_b16_e32 v34, 12, v3
	v_mul_lo_u16_e32 v3, 17, v34
	v_mov_b32_e32 v1, 4
	v_sub_u16_e32 v35, v2, v3
	v_mul_lo_u16_sdwa v0, v132, s6 dst_sel:DWORD dst_unused:UNUSED_PAD src0_sel:BYTE_0 src1_sel:DWORD
	v_lshlrev_b32_sdwa v2, v1, v35 dst_sel:DWORD dst_unused:UNUSED_PAD src0_sel:DWORD src1_sel:BYTE_0
	s_load_dwordx4 s[0:3], s[2:3], 0x0
	s_waitcnt lgkmcnt(0)
	s_barrier
	v_lshrrev_b16_e32 v32, 12, v0
	global_load_dwordx4 v[8:11], v2, s[4:5]
	v_add_u16_e32 v2, 51, v132
	v_mul_lo_u16_e32 v0, 17, v32
	v_mul_lo_u16_sdwa v3, v2, s6 dst_sel:DWORD dst_unused:UNUSED_PAD src0_sel:BYTE_0 src1_sel:DWORD
	v_sub_u16_e32 v33, v132, v0
	v_lshrrev_b16_e32 v36, 12, v3
	v_lshlrev_b16_e32 v0, 1, v33
	v_mul_lo_u16_e32 v3, 17, v36
	v_and_b32_e32 v0, 0xfe, v0
	v_sub_u16_e32 v37, v2, v3
	v_lshlrev_b32_sdwa v1, v1, v37 dst_sel:DWORD dst_unused:UNUSED_PAD src0_sel:DWORD src1_sel:BYTE_0
	v_lshlrev_b32_e32 v0, 3, v0
	global_load_dwordx4 v[4:7], v1, s[4:5]
	v_add_lshl_u32 v252, v49, v132, 3
	global_load_dwordx4 v[0:3], v0, s[4:5]
	ds_read2_b64 v[12:15], v252 offset0:102 offset1:153
	ds_read2_b64 v[16:19], v252 offset0:204 offset1:255
	ds_read_b64 v[28:29], v252 offset:3264
	ds_read2_b64 v[20:23], v252 offset1:51
	v_add_u32_e32 v44, 0x800, v252
	ds_read2_b64 v[24:27], v44 offset0:50 offset1:101
	v_mul_u32_u24_e32 v36, 51, v36
	v_mul_u32_u24_e32 v34, 51, v34
	v_mad_legacy_u16 v32, v32, 51, v33
	v_add_u32_sdwa v33, v36, v37 dst_sel:DWORD dst_unused:UNUSED_PAD src0_sel:DWORD src1_sel:BYTE_0
	v_add_u32_sdwa v34, v34, v35 dst_sel:DWORD dst_unused:UNUSED_PAD src0_sel:DWORD src1_sel:BYTE_0
	v_and_b32_e32 v32, 0xff, v32
	v_add_lshl_u32 v129, v49, v33, 3
	v_add_lshl_u32 v128, v49, v34, 3
	;; [unrolled: 1-line block ×3, first 2 shown]
	s_mov_b32 s6, 0x3f5db3d7
	s_waitcnt lgkmcnt(0)
	s_barrier
	s_mov_b32 s20, 0x3f248dbb
	s_mov_b32 s18, 0x3f7c1c5c
	;; [unrolled: 1-line block ×7, first 2 shown]
	s_waitcnt vmcnt(2)
	v_pk_mul_f32 v[32:33], v[18:19], v[8:9] op_sel:[0,1]
	v_mov_b32_e32 v34, v11
	v_pk_fma_f32 v[36:37], v[18:19], v[8:9], v[32:33] op_sel:[0,0,1] op_sel_hi:[1,1,0] neg_lo:[0,0,1] neg_hi:[0,0,1]
	v_pk_fma_f32 v[18:19], v[18:19], v[8:9], v[32:33] op_sel:[0,0,1] op_sel_hi:[1,0,0]
	v_pk_mul_f32 v[32:33], v[28:29], v[34:35] op_sel_hi:[1,0]
	v_mov_b32_e32 v37, v19
	v_pk_fma_f32 v[18:19], v[28:29], v[10:11], v[32:33] op_sel:[0,0,1] op_sel_hi:[1,1,0] neg_lo:[0,0,1] neg_hi:[0,0,1]
	v_pk_fma_f32 v[28:29], v[28:29], v[10:11], v[32:33] op_sel:[0,0,1] op_sel_hi:[1,0,0]
	v_pk_add_f32 v[40:41], v[12:13], v[36:37]
	v_mov_b32_e32 v19, v29
	s_waitcnt vmcnt(1)
	v_pk_mul_f32 v[32:33], v[16:17], v[4:5] op_sel:[0,1]
	s_nop 0
	v_pk_fma_f32 v[42:43], v[16:17], v[4:5], v[32:33] op_sel:[0,0,1] op_sel_hi:[1,1,0] neg_lo:[0,0,1] neg_hi:[0,0,1]
	s_waitcnt vmcnt(0)
	v_pk_mul_f32 v[34:35], v[14:15], v[0:1] op_sel:[0,1]
	v_mov_b32_e32 v38, v3
	v_pk_fma_f32 v[16:17], v[16:17], v[4:5], v[32:33] op_sel:[0,0,1] op_sel_hi:[1,0,0]
	v_pk_fma_f32 v[32:33], v[14:15], v[0:1], v[34:35] op_sel:[0,0,1] op_sel_hi:[1,1,0] neg_lo:[0,0,1] neg_hi:[0,0,1]
	v_pk_fma_f32 v[14:15], v[14:15], v[0:1], v[34:35] op_sel:[0,0,1] op_sel_hi:[1,0,0]
	v_pk_mul_f32 v[34:35], v[24:25], v[38:39] op_sel_hi:[1,0]
	v_mov_b32_e32 v28, v7
	v_mov_b32_e32 v33, v15
	v_pk_fma_f32 v[14:15], v[24:25], v[2:3], v[34:35] op_sel:[0,0,1] op_sel_hi:[1,1,0] neg_lo:[0,0,1] neg_hi:[0,0,1]
	v_pk_fma_f32 v[24:25], v[24:25], v[2:3], v[34:35] op_sel:[0,0,1] op_sel_hi:[1,0,0]
	v_pk_mul_f32 v[28:29], v[26:27], v[28:29] op_sel_hi:[1,0]
	v_mov_b32_e32 v15, v25
	v_pk_add_f32 v[24:25], v[20:21], v[32:33]
	v_mov_b32_e32 v43, v17
	v_pk_fma_f32 v[16:17], v[26:27], v[6:7], v[28:29] op_sel:[0,0,1] op_sel_hi:[1,1,0] neg_lo:[0,0,1] neg_hi:[0,0,1]
	v_pk_fma_f32 v[26:27], v[26:27], v[6:7], v[28:29] op_sel:[0,0,1] op_sel_hi:[1,0,0]
	v_pk_add_f32 v[24:25], v[24:25], v[14:15]
	v_pk_add_f32 v[28:29], v[32:33], v[14:15]
	v_pk_add_f32 v[14:15], v[32:33], v[14:15] neg_lo:[0,1] neg_hi:[0,1]
	v_mov_b32_e32 v17, v27
	v_pk_add_f32 v[26:27], v[22:23], v[42:43]
	v_pk_fma_f32 v[20:21], v[28:29], 0.5, v[20:21] op_sel_hi:[1,0,1] neg_lo:[1,0,0] neg_hi:[1,0,0]
	v_pk_mul_f32 v[14:15], v[14:15], s[6:7] op_sel_hi:[1,0]
	v_pk_add_f32 v[26:27], v[26:27], v[16:17]
	v_pk_add_f32 v[32:33], v[42:43], v[16:17]
	v_pk_add_f32 v[16:17], v[42:43], v[16:17] neg_lo:[0,1] neg_hi:[0,1]
	v_pk_add_f32 v[28:29], v[20:21], v[14:15] op_sel:[0,1] op_sel_hi:[1,0]
	v_pk_add_f32 v[14:15], v[20:21], v[14:15] op_sel:[0,1] op_sel_hi:[1,0] neg_lo:[0,1] neg_hi:[0,1]
	v_pk_fma_f32 v[22:23], v[32:33], 0.5, v[22:23] op_sel_hi:[1,0,1] neg_lo:[1,0,0] neg_hi:[1,0,0]
	v_pk_mul_f32 v[16:17], v[16:17], s[6:7] op_sel_hi:[1,0]
	v_mov_b32_e32 v32, v28
	v_mov_b32_e32 v33, v15
	;; [unrolled: 1-line block ×3, first 2 shown]
	v_pk_add_f32 v[20:21], v[22:23], v[16:17] op_sel:[0,1] op_sel_hi:[1,0]
	ds_write2_b64 v130, v[24:25], v[32:33] offset1:17
	ds_write_b64 v130, v[14:15] offset:272
	v_pk_add_f32 v[14:15], v[22:23], v[16:17] op_sel:[0,1] op_sel_hi:[1,0] neg_lo:[0,1] neg_hi:[0,1]
	v_mov_b32_e32 v16, v20
	v_mov_b32_e32 v17, v15
	;; [unrolled: 1-line block ×3, first 2 shown]
	ds_write_b64 v129, v[14:15] offset:272
	v_pk_add_f32 v[14:15], v[36:37], v[18:19]
	ds_write2_b64 v129, v[26:27], v[16:17] offset1:17
	v_pk_fma_f32 v[12:13], v[14:15], 0.5, v[12:13] op_sel_hi:[1,0,1] neg_lo:[1,0,0] neg_hi:[1,0,0]
	v_pk_add_f32 v[14:15], v[36:37], v[18:19] neg_lo:[0,1] neg_hi:[0,1]
	v_pk_add_f32 v[38:39], v[40:41], v[18:19]
	v_pk_mul_f32 v[14:15], v[14:15], s[6:7] op_sel_hi:[1,0]
	v_lshlrev_b32_e32 v28, 6, v132
	v_pk_add_f32 v[16:17], v[12:13], v[14:15] op_sel:[0,1] op_sel_hi:[1,0]
	v_pk_add_f32 v[12:13], v[12:13], v[14:15] op_sel:[0,1] op_sel_hi:[1,0] neg_lo:[0,1] neg_hi:[0,1]
	v_mov_b32_e32 v14, v16
	v_mov_b32_e32 v15, v13
	;; [unrolled: 1-line block ×3, first 2 shown]
	ds_write2_b64 v128, v[38:39], v[14:15] offset1:17
	ds_write_b64 v128, v[12:13] offset:272
	s_waitcnt lgkmcnt(0)
	s_barrier
	global_load_dwordx4 v[20:23], v28, s[4:5] offset:288
	global_load_dwordx4 v[16:19], v28, s[4:5] offset:304
	;; [unrolled: 1-line block ×4, first 2 shown]
	ds_read2_b64 v[32:35], v252 offset0:102 offset1:153
	ds_read2_b64 v[36:39], v252 offset0:204 offset1:255
	;; [unrolled: 1-line block ×3, first 2 shown]
	ds_read2_b64 v[44:47], v252 offset1:51
	ds_read_b64 v[28:29], v252 offset:3264
	s_mov_b32 s4, 0x3f441b7d
	s_waitcnt vmcnt(3)
	v_mov_b32_e32 v52, v21
	s_waitcnt vmcnt(2) lgkmcnt(3)
	v_pk_mul_f32 v[58:59], v[38:39], v[16:17] op_sel:[1,0] op_sel_hi:[0,1]
	v_pk_mul_f32 v[54:55], v[34:35], v[20:21] op_sel:[1,0] op_sel_hi:[0,1]
	v_mov_b32_e32 v56, v17
	v_mov_b32_e32 v58, v19
	s_waitcnt lgkmcnt(2)
	v_pk_mul_f32 v[60:61], v[40:41], v[18:19] op_sel:[1,0] op_sel_hi:[0,1]
	s_waitcnt vmcnt(1) lgkmcnt(1)
	v_pk_mul_f32 v[64:65], v[46:47], v[24:25] op_sel:[0,1]
	v_mov_b32_e32 v66, v27
	s_waitcnt vmcnt(0)
	v_pk_mul_f32 v[68:69], v[42:43], v[12:13] op_sel:[0,1]
	v_mov_b32_e32 v70, v15
	v_pk_mul_f32 v[52:53], v[34:35], v[52:53] op_sel:[1,0] op_sel_hi:[0,1]
	v_mov_b32_e32 v51, v54
	v_pk_mul_f32 v[54:55], v[38:39], v[56:57] op_sel:[1,0] op_sel_hi:[0,1]
	;; [unrolled: 2-line block ×3, first 2 shown]
	v_mov_b32_e32 v57, v60
	v_pk_fma_f32 v[60:61], v[46:47], v[24:25], v[64:65] op_sel:[0,0,1] op_sel_hi:[1,1,0] neg_lo:[0,0,1] neg_hi:[0,0,1]
	v_pk_fma_f32 v[46:47], v[46:47], v[24:25], v[64:65] op_sel:[0,0,1] op_sel_hi:[1,0,0]
	v_pk_mul_f32 v[64:65], v[32:33], v[66:67] op_sel_hi:[1,0]
	v_pk_fma_f32 v[66:67], v[42:43], v[12:13], v[68:69] op_sel:[0,0,1] op_sel_hi:[1,1,0] neg_lo:[0,0,1] neg_hi:[0,0,1]
	v_pk_fma_f32 v[42:43], v[42:43], v[12:13], v[68:69] op_sel:[0,0,1] op_sel_hi:[1,0,0]
	s_waitcnt lgkmcnt(0)
	v_pk_mul_f32 v[68:69], v[28:29], v[70:71] op_sel_hi:[1,0]
	v_pk_fma_f32 v[52:53], v[34:35], v[20:21], v[52:53] neg_lo:[0,0,1] neg_hi:[0,0,1]
	v_pk_fma_f32 v[34:35], v[34:35], v[20:21], v[50:51] op_sel:[1,0,0] op_sel_hi:[0,1,1]
	v_pk_fma_f32 v[54:55], v[38:39], v[16:17], v[54:55] neg_lo:[0,0,1] neg_hi:[0,0,1]
	v_pk_fma_f32 v[70:71], v[38:39], v[16:17], v[56:57] op_sel:[1,0,0] op_sel_hi:[0,1,1]
	;; [unrolled: 2-line block ×3, first 2 shown]
	v_mov_b32_e32 v61, v47
	v_pk_fma_f32 v[46:47], v[32:33], v[26:27], v[64:65] op_sel:[0,0,1] op_sel_hi:[1,1,0] neg_lo:[0,0,1] neg_hi:[0,0,1]
	v_pk_fma_f32 v[32:33], v[32:33], v[26:27], v[64:65] op_sel:[0,0,1] op_sel_hi:[1,0,0]
	v_mov_b32_e32 v67, v43
	v_pk_fma_f32 v[42:43], v[28:29], v[14:15], v[68:69] op_sel:[0,0,1] op_sel_hi:[1,1,0] neg_lo:[0,0,1] neg_hi:[0,0,1]
	v_pk_fma_f32 v[28:29], v[28:29], v[14:15], v[68:69] op_sel:[0,0,1] op_sel_hi:[1,0,0]
	v_mov_b32_e32 v53, v35
	v_mov_b32_e32 v39, v41
	;; [unrolled: 1-line block ×4, first 2 shown]
	v_pk_add_f32 v[28:29], v[52:53], v[38:39]
	v_pk_add_f32 v[32:33], v[52:53], v[38:39] neg_lo:[0,1] neg_hi:[0,1]
	v_pk_add_f32 v[52:53], v[60:61], v[42:43]
	v_pk_add_f32 v[42:43], v[60:61], v[42:43] neg_lo:[0,1] neg_hi:[0,1]
	v_pk_add_f32 v[40:41], v[46:47], v[66:67] neg_lo:[0,1] neg_hi:[0,1]
	v_mov_b32_e32 v58, v23
	v_mov_b32_e32 v38, v41
	;; [unrolled: 1-line block ×3, first 2 shown]
	v_pk_mul_f32 v[58:59], v[36:37], v[58:59] op_sel_hi:[1,0]
	v_mov_b32_e32 v34, v43
	v_mov_b32_e32 v35, v40
	v_pk_mul_f32 v[38:39], v[38:39], s[18:19]
	v_pk_fma_f32 v[60:61], v[36:37], v[22:23], v[58:59] op_sel:[0,0,1] op_sel_hi:[1,1,0] neg_lo:[0,0,1] neg_hi:[0,0,1]
	v_pk_fma_f32 v[36:37], v[36:37], v[22:23], v[58:59] op_sel:[0,0,1] op_sel_hi:[1,0,0]
	v_mov_b32_e32 v71, v54
	v_pk_mul_f32 v[32:33], v[32:33], s[6:7] op_sel_hi:[1,0]
	v_pk_fma_f32 v[34:35], v[34:35], s[20:21], v[38:39]
	v_mov_b32_e32 v61, v37
	v_mov_b32_e32 v36, v37
	v_mov_b32_e32 v37, v60
	v_pk_add_f32 v[34:35], v[32:33], v[34:35] op_sel:[1,0] op_sel_hi:[0,1]
	v_pk_add_f32 v[58:59], v[36:37], v[70:71] neg_lo:[0,1] neg_hi:[0,1]
	s_mov_b32 s20, 0xbf248dbb
	v_pk_fma_f32 v[64:65], v[58:59], s[16:17], v[34:35] op_sel_hi:[1,0,1]
	v_pk_mul_f32 v[34:35], v[58:59], s[20:21] op_sel_hi:[1,0]
	v_pk_add_f32 v[56:57], v[46:47], v[66:67]
	v_pk_fma_f32 v[38:39], v[52:53], s[4:5], v[44:45] op_sel_hi:[1,0,1]
	v_pk_fma_f32 v[34:35], v[42:43], s[18:19], v[34:35] op_sel:[1,0,0] op_sel_hi:[0,0,1]
	v_pk_fma_f32 v[38:39], v[56:57], s[10:11], v[38:39] op_sel_hi:[1,0,1]
	v_pk_add_f32 v[66:67], v[36:37], v[70:71]
	v_mul_f32_e32 v36, 0x3f7c1c5c, v59
	v_mul_f32_e32 v37, 0x3f7c1c5c, v58
	v_pk_add_f32 v[34:35], v[34:35], v[32:33] op_sel:[0,1] op_sel_hi:[1,0] neg_lo:[0,1] neg_hi:[0,1]
	v_pk_fma_f32 v[38:39], v[28:29], 0.5, v[38:39] op_sel_hi:[1,0,1] neg_lo:[1,0,0] neg_hi:[1,0,0]
	v_pk_fma_f32 v[68:69], v[40:41], s[16:17], v[34:35] op_sel:[1,0,0] op_sel_hi:[0,0,1]
	v_fma_f32 v34, v40, s20, -v36
	v_fma_f32 v35, v41, s20, -v37
	v_add_f32_e32 v73, v32, v34
	v_add_f32_e32 v72, v33, v35
	v_pk_fma_f32 v[32:33], v[66:67], s[14:15], v[38:39] op_sel:[1,0,0] op_sel_hi:[0,0,1] neg_lo:[1,0,0] neg_hi:[1,0,0]
	v_pk_add_f32 v[36:37], v[32:33], v[64:65]
	v_pk_add_f32 v[34:35], v[32:33], v[64:65] neg_lo:[0,1] neg_hi:[0,1]
	v_pk_fma_f32 v[32:33], v[66:67], s[4:5], v[44:45] op_sel:[1,0,0] op_sel_hi:[0,0,1]
	v_pk_add_f32 v[46:47], v[56:57], v[52:53]
	v_mov_b32_e32 v34, v36
	v_pk_fma_f32 v[32:33], v[52:53], s[10:11], v[32:33] op_sel_hi:[1,0,1]
	v_mov_b32_e32 v37, v35
	v_fmac_f32_e32 v34, -2.0, v64
	v_fmac_f32_e32 v35, 2.0, v65
	v_pk_fma_f32 v[32:33], v[28:29], 0.5, v[32:33] op_sel_hi:[1,0,1] neg_lo:[1,0,0] neg_hi:[1,0,0]
	v_pk_add_f32 v[64:65], v[66:67], v[46:47] op_sel:[1,0] op_sel_hi:[0,1]
	v_pk_add_f32 v[46:47], v[28:29], v[46:47]
	v_pk_fma_f32 v[32:33], v[56:57], s[14:15], v[32:33] op_sel_hi:[1,0,1] neg_lo:[1,0,0] neg_hi:[1,0,0]
	v_pk_add_f32 v[58:59], v[58:59], v[42:43] op_sel:[0,1] op_sel_hi:[1,0]
	v_pk_add_f32 v[60:61], v[60:61], v[46:47]
	v_pk_add_f32 v[46:47], v[28:29], v[44:45]
	;; [unrolled: 1-line block ×3, first 2 shown]
	v_pk_add_f32 v[32:33], v[32:33], v[68:69] neg_lo:[0,1] neg_hi:[0,1]
	v_pk_add_f32 v[40:41], v[58:59], v[40:41] op_sel:[0,1] op_sel_hi:[1,0] neg_lo:[0,1] neg_hi:[0,1]
	v_pk_fma_f32 v[46:47], v[64:65], 0.5, v[46:47] op_sel_hi:[1,0,1] neg_lo:[1,0,0] neg_hi:[1,0,0]
	v_mov_b32_e32 v32, v38
	v_pk_mul_f32 v[58:59], v[40:41], s[6:7] op_sel_hi:[1,0]
	v_pk_fma_f32 v[64:65], v[40:41], s[6:7], v[46:47] op_sel_hi:[1,0,1]
	v_pk_fma_f32 v[74:75], v[40:41], s[6:7], v[46:47] op_sel_hi:[1,0,1] neg_lo:[1,0,0] neg_hi:[1,0,0]
	v_mov_b32_e32 v39, v33
	v_fmac_f32_e32 v32, -2.0, v68
	v_fmac_f32_e32 v33, 2.0, v69
	v_add_f32_e32 v58, v58, v58
	v_add_f32_e32 v69, v59, v59
	v_mov_b32_e32 v68, v64
	v_mov_b32_e32 v59, v75
	v_pk_add_f32 v[46:47], v[64:65], v[58:59] neg_lo:[0,1] neg_hi:[0,1]
	v_pk_add_f32 v[58:59], v[68:69], v[74:75]
	v_mov_b32_e32 v55, v70
	v_mov_b32_e32 v47, v59
	v_pk_fma_f32 v[58:59], v[42:43], s[16:17], v[72:73] op_sel:[1,0,0] op_sel_hi:[0,0,1]
	v_pk_add_f32 v[42:43], v[54:55], v[60:61]
	v_mov_b32_e32 v40, v64
	v_pk_add_f32 v[64:65], v[42:43], v[44:45]
	v_pk_fma_f32 v[42:43], v[56:57], s[4:5], v[44:45] op_sel_hi:[1,0,1]
	v_add_f32_e32 v55, v59, v59
	v_pk_fma_f32 v[42:43], v[66:67], s[10:11], v[42:43] op_sel:[1,0,0] op_sel_hi:[0,0,1]
	v_pk_fma_f32 v[28:29], v[28:29], 0.5, v[42:43] op_sel_hi:[1,0,1] neg_lo:[1,0,0] neg_hi:[1,0,0]
	v_mov_b32_e32 v41, v75
	v_pk_fma_f32 v[28:29], v[52:53], s[14:15], v[28:29] op_sel_hi:[1,0,1] neg_lo:[1,0,0] neg_hi:[1,0,0]
	v_add_f32_e32 v52, v58, v58
	v_pk_add_f32 v[44:45], v[28:29], v[58:59]
	v_pk_add_f32 v[28:29], v[28:29], v[58:59] neg_lo:[0,1] neg_hi:[0,1]
	v_mov_b32_e32 v54, v44
	v_mov_b32_e32 v43, v29
	;; [unrolled: 1-line block ×3, first 2 shown]
	v_pk_add_f32 v[28:29], v[54:55], v[28:29]
	v_mov_b32_e32 v42, v44
	v_accvgpr_read_b32 v28, a1
	v_pk_add_f32 v[44:45], v[44:45], v[52:53] neg_lo:[0,1] neg_hi:[0,1]
	v_lshl_add_u32 v253, v132, 3, v28
	v_mov_b32_e32 v45, v29
	v_lshl_add_u32 v131, v132, 3, v28
	v_add_u32_e32 v29, 0x400, v253
	v_add_u32_e32 v28, 0x800, v253
	ds_write_b64 v131, v[64:65]
	ds_write2_b64 v253, v[36:37], v[38:39] offset0:51 offset1:102
	ds_write2_b64 v253, v[40:41], v[42:43] offset0:153 offset1:204
	;; [unrolled: 1-line block ×4, first 2 shown]
	s_waitcnt lgkmcnt(0)
	s_barrier
	s_and_saveexec_b64 s[4:5], vcc
	s_cbranch_execz .LBB0_9
; %bb.8:
	v_accvgpr_read_b32 v48, a0
	global_load_dwordx2 v[52:53], v48, s[8:9] offset:3672
	s_add_u32 s6, s8, 0xe58
	s_addc_u32 s7, s9, 0
	global_load_dwordx2 v[60:61], v48, s[6:7] offset:216
	global_load_dwordx2 v[86:87], v48, s[6:7] offset:432
	;; [unrolled: 1-line block ×14, first 2 shown]
	ds_read_b64 v[54:55], v131
	global_load_dwordx2 v[112:113], v48, s[6:7] offset:3240
	global_load_dwordx2 v[114:115], v48, s[6:7] offset:3456
	s_waitcnt vmcnt(16) lgkmcnt(0)
	v_mul_f32_e32 v48, v55, v53
	v_mul_f32_e32 v57, v54, v53
	v_fma_f32 v56, v54, v52, -v48
	v_fmac_f32_e32 v57, v55, v52
	ds_write_b64 v131, v[56:57]
	ds_read2_b64 v[52:55], v253 offset0:27 offset1:54
	ds_read2_b64 v[56:59], v253 offset0:81 offset1:108
	;; [unrolled: 1-line block ×7, first 2 shown]
	s_waitcnt vmcnt(15) lgkmcnt(6)
	v_mul_f32_e32 v48, v53, v61
	v_mul_f32_e32 v117, v52, v61
	s_waitcnt vmcnt(14)
	v_mul_f32_e32 v49, v55, v87
	v_mul_f32_e32 v61, v54, v87
	s_waitcnt vmcnt(13) lgkmcnt(5)
	v_mul_f32_e32 v51, v57, v89
	v_mul_f32_e32 v87, v56, v89
	s_waitcnt vmcnt(12)
	v_mul_f32_e32 v118, v59, v91
	v_mul_f32_e32 v89, v58, v91
	;; [unrolled: 6-line block ×6, first 2 shown]
	v_fma_f32 v116, v52, v60, -v48
	v_fmac_f32_e32 v117, v53, v60
	v_fma_f32 v60, v54, v86, -v49
	v_fmac_f32_e32 v61, v55, v86
	;; [unrolled: 2-line block ×12, first 2 shown]
	ds_write2_b64 v253, v[116:117], v[60:61] offset0:27 offset1:54
	ds_write2_b64 v253, v[86:87], v[88:89] offset0:81 offset1:108
	;; [unrolled: 1-line block ×6, first 2 shown]
	ds_read2_b64 v[52:55], v28 offset0:149 offset1:176
	s_waitcnt vmcnt(3) lgkmcnt(7)
	v_mul_f32_e32 v127, v83, v109
	v_mul_f32_e32 v107, v82, v109
	s_waitcnt vmcnt(2)
	v_mul_f32_e32 v109, v85, v111
	v_mul_f32_e32 v57, v84, v111
	v_fma_f32 v106, v82, v108, -v127
	v_fmac_f32_e32 v107, v83, v108
	v_fma_f32 v56, v84, v110, -v109
	v_fmac_f32_e32 v57, v85, v110
	ds_write2_b64 v28, v[106:107], v[56:57] offset0:95 offset1:122
	s_waitcnt vmcnt(1) lgkmcnt(1)
	v_mul_f32_e32 v29, v53, v113
	v_mul_f32_e32 v57, v52, v113
	v_fma_f32 v56, v52, v112, -v29
	v_fmac_f32_e32 v57, v53, v112
	s_waitcnt vmcnt(0)
	v_mul_f32_e32 v29, v55, v115
	v_mul_f32_e32 v53, v54, v115
	v_accvgpr_read_b32 v48, a2
	v_fma_f32 v52, v54, v114, -v29
	v_fmac_f32_e32 v53, v55, v114
	ds_write2_b64 v28, v[56:57], v[52:53] offset0:149 offset1:176
.LBB0_9:
	s_or_b64 exec, exec, s[4:5]
	s_waitcnt lgkmcnt(0)
	s_barrier
	s_and_saveexec_b64 s[4:5], vcc
	s_cbranch_execz .LBB0_11
; %bb.10:
	ds_read2_b64 v[36:39], v131 offset0:27 offset1:54
	ds_read_b64 v[64:65], v131
	ds_read2_b64 v[40:43], v131 offset0:81 offset1:108
	ds_read2_b64 v[44:47], v131 offset0:135 offset1:162
	;; [unrolled: 1-line block ×3, first 2 shown]
	v_add_u32_e32 v48, 0x800, v131
	ds_read2_b64 v[28:31], v48 offset0:149 offset1:176
	ds_read2_b64 v[52:55], v48 offset0:95 offset1:122
	v_add_u32_e32 v49, 0x400, v131
	ds_read2_b64 v[56:59], v48 offset0:41 offset1:68
	ds_read2_b64 v[60:63], v49 offset0:115 offset1:142
	v_accvgpr_read_b32 v48, a2
	s_waitcnt lgkmcnt(3)
	v_mov_b64_e32 v[160:161], v[28:29]
	s_waitcnt lgkmcnt(2)
	v_mov_b64_e32 v[164:165], v[54:55]
	s_waitcnt lgkmcnt(1)
	v_accvgpr_write_b32 a6, v56
	s_waitcnt lgkmcnt(0)
	v_accvgpr_write_b32 a8, v62
	v_mov_b64_e32 v[170:171], v[52:53]
	v_mov_b64_e32 v[172:173], v[58:59]
	v_accvgpr_write_b32 a7, v57
	v_accvgpr_write_b32 a9, v63
	v_mov_b64_e32 v[62:63], v[60:61]
.LBB0_11:
	s_or_b64 exec, exec, s[4:5]
	v_mov_b32_e32 v86, v8
	v_mov_b32_e32 v87, v8
	;; [unrolled: 1-line block ×33, first 2 shown]
	s_barrier
	s_and_saveexec_b64 s[4:5], vcc
	s_cbranch_execz .LBB0_13
; %bb.12:
	v_pk_add_f32 v[28:29], v[36:37], v[64:65]
	v_accvgpr_read_b32 v48, a1
	v_pk_add_f32 v[28:29], v[38:39], v[28:29]
	v_accvgpr_read_b32 v53, a9
	v_pk_add_f32 v[28:29], v[40:41], v[28:29]
	v_lshl_add_u32 v92, v50, 3, v48
	v_pk_add_f32 v[28:29], v[42:43], v[28:29]
	v_accvgpr_read_b32 v52, a8
	v_pk_add_f32 v[28:29], v[44:45], v[28:29]
	v_accvgpr_read_b32 v49, a7
	;; [unrolled: 2-line block ×3, first 2 shown]
	v_pk_add_f32 v[28:29], v[32:33], v[28:29]
	v_pk_add_f32 v[182:183], v[36:37], v[30:31] neg_lo:[0,1] neg_hi:[0,1]
	v_pk_add_f32 v[28:29], v[34:35], v[28:29]
	s_mov_b32 s26, 0xbeb8f4ab
	v_pk_add_f32 v[28:29], v[62:63], v[28:29]
	v_pk_add_f32 v[180:181], v[30:31], v[36:37]
	;; [unrolled: 1-line block ×3, first 2 shown]
	v_pk_add_f32 v[178:179], v[38:39], v[160:161] neg_lo:[0,1] neg_hi:[0,1]
	v_pk_add_f32 v[28:29], v[48:49], v[28:29]
	s_mov_b32 s16, 0x3f6eb680
	v_pk_add_f32 v[28:29], v[172:173], v[28:29]
	s_mov_b32 s40, 0xbf2c7751
	v_pk_add_f32 v[28:29], v[170:171], v[28:29]
	v_pk_add_f32 v[176:177], v[160:161], v[38:39]
	;; [unrolled: 1-line block ×5, first 2 shown]
	v_pk_add_f32 v[142:143], v[32:33], v[52:53] neg_lo:[0,1] neg_hi:[0,1]
	v_pk_add_f32 v[50:51], v[30:31], v[28:29]
	v_pk_mul_f32 v[30:31], v[182:183], s[26:27] op_sel_hi:[1,0]
	v_accvgpr_write_b32 a1, v128
	v_accvgpr_write_b32 a3, v129
	v_pk_add_f32 v[128:129], v[62:63], v[34:35]
	v_accvgpr_write_b32 a5, v130
	v_accvgpr_write_b32 a6, v131
	v_pk_add_f32 v[130:131], v[34:35], v[62:63] neg_lo:[0,1] neg_hi:[0,1]
	v_pk_fma_f32 v[32:33], v[180:181], s[16:17], v[30:31] op_sel:[0,0,1] op_sel_hi:[1,0,0]
	v_pk_fma_f32 v[28:29], v[180:181], s[16:17], v[30:31] op_sel:[0,0,1] op_sel_hi:[1,0,0] neg_lo:[0,0,1] neg_hi:[0,0,1]
	s_mov_b32 s14, 0x3f3d2fb0
	v_pk_mul_f32 v[34:35], v[178:179], s[40:41] op_sel_hi:[1,0]
	v_accvgpr_write_b32 a7, v33
	v_mov_b32_e32 v33, v29
	v_accvgpr_write_b32 a8, v28
	v_pk_fma_f32 v[38:39], v[176:177], s[14:15], v[34:35] op_sel:[0,0,1] op_sel_hi:[1,0,0]
	v_pk_fma_f32 v[28:29], v[176:177], s[14:15], v[34:35] op_sel:[0,0,1] op_sel_hi:[1,0,0] neg_lo:[0,0,1] neg_hi:[0,0,1]
	v_pk_add_f32 v[174:175], v[40:41], v[164:165] neg_lo:[0,1] neg_hi:[0,1]
	v_pk_add_f32 v[36:37], v[64:65], v[32:33]
	v_accvgpr_write_b32 a9, v39
	v_mov_b32_e32 v39, v29
	s_mov_b32 s48, 0xbf65296c
	v_pk_add_f32 v[168:169], v[164:165], v[40:41]
	v_pk_add_f32 v[40:41], v[38:39], v[36:37]
	s_mov_b32 s10, 0x3ee437d1
	v_pk_mul_f32 v[38:39], v[174:175], s[48:49] op_sel_hi:[1,0]
	v_pk_add_f32 v[160:161], v[170:171], v[42:43]
	v_pk_add_f32 v[166:167], v[42:43], v[170:171] neg_lo:[0,1] neg_hi:[0,1]
	v_accvgpr_write_b32 a10, v28
	v_pk_fma_f32 v[42:43], v[168:169], s[10:11], v[38:39] op_sel:[0,0,1] op_sel_hi:[1,0,0]
	v_pk_fma_f32 v[28:29], v[168:169], s[10:11], v[38:39] op_sel:[0,0,1] op_sel_hi:[1,0,0] neg_lo:[0,0,1] neg_hi:[0,0,1]
	v_accvgpr_write_b32 a11, v43
	v_mov_b32_e32 v43, v29
	s_mov_b32 s38, 0xbf7ee86f
	v_pk_add_f32 v[152:153], v[172:173], v[44:45]
	v_pk_add_f32 v[158:159], v[44:45], v[172:173] neg_lo:[0,1] neg_hi:[0,1]
	v_pk_add_f32 v[44:45], v[42:43], v[40:41]
	s_mov_b32 s6, 0x3dbcf732
	v_pk_mul_f32 v[42:43], v[166:167], s[38:39] op_sel_hi:[1,0]
	v_pk_add_f32 v[144:145], v[48:49], v[46:47]
	v_pk_add_f32 v[146:147], v[46:47], v[48:49] neg_lo:[0,1] neg_hi:[0,1]
	v_accvgpr_write_b32 a12, v28
	v_pk_fma_f32 v[46:47], v[160:161], s[6:7], v[42:43] op_sel:[0,0,1] op_sel_hi:[1,0,0]
	v_pk_fma_f32 v[28:29], v[160:161], s[6:7], v[42:43] op_sel:[0,0,1] op_sel_hi:[1,0,0] neg_lo:[0,0,1] neg_hi:[0,0,1]
	v_accvgpr_write_b32 a13, v47
	v_mov_b32_e32 v47, v29
	s_mov_b32 s20, 0xbf763a35
	v_pk_add_f32 v[52:53], v[46:47], v[44:45]
	s_mov_b32 s18, 0xbe8c1d8e
	v_pk_mul_f32 v[46:47], v[158:159], s[20:21] op_sel_hi:[1,0]
	s_mov_b32 s36, 0xbe3c28d5
	v_accvgpr_write_b32 a14, v28
	v_pk_fma_f32 v[54:55], v[152:153], s[18:19], v[46:47] op_sel:[0,0,1] op_sel_hi:[1,0,0]
	v_pk_fma_f32 v[28:29], v[152:153], s[18:19], v[46:47] op_sel:[0,0,1] op_sel_hi:[1,0,0] neg_lo:[0,0,1] neg_hi:[0,0,1]
	s_mov_b32 s24, 0xbf4c4adb
	s_mov_b32 s34, 0xbf7ba420
	v_pk_mul_f32 v[102:103], v[166:167], s[36:37] op_sel_hi:[1,0]
	s_mov_b32 s52, 0x3f06c442
	v_pk_mul_f32 v[122:123], v[182:183], s[48:49] op_sel_hi:[1,0]
	v_accvgpr_write_b32 a15, v55
	v_mov_b32_e32 v55, v29
	s_mov_b32 s22, 0xbf1a4643
	s_mov_b32 s28, 0xbf59a7d5
	v_pk_fma_f32 v[104:105], v[160:161], s[34:35], v[102:103] op_sel:[0,0,1] op_sel_hi:[1,0,0]
	v_pk_fma_f32 v[102:103], v[160:161], s[34:35], v[102:103] op_sel:[0,0,1] op_sel_hi:[1,0,0] neg_lo:[0,0,1] neg_hi:[0,0,1]
	v_pk_mul_f32 v[106:107], v[158:159], s[52:53] op_sel_hi:[1,0]
	v_pk_fma_f32 v[124:125], v[180:181], s[10:11], v[122:123] op_sel:[0,0,1] op_sel_hi:[1,0,0]
	v_pk_fma_f32 v[122:123], v[180:181], s[10:11], v[122:123] op_sel:[0,0,1] op_sel_hi:[1,0,0] neg_lo:[0,0,1] neg_hi:[0,0,1]
	v_pk_mul_f32 v[126:127], v[178:179], s[24:25] op_sel_hi:[1,0]
	v_pk_add_f32 v[56:57], v[54:55], v[52:53]
	v_pk_mul_f32 v[54:55], v[146:147], s[24:25] op_sel_hi:[1,0]
	v_accvgpr_write_b32 a29, v105
	v_mov_b32_e32 v105, v103
	v_pk_fma_f32 v[108:109], v[152:153], s[28:29], v[106:107] op_sel:[0,0,1] op_sel_hi:[1,0,0]
	v_pk_fma_f32 v[106:107], v[152:153], s[28:29], v[106:107] op_sel:[0,0,1] op_sel_hi:[1,0,0] neg_lo:[0,0,1] neg_hi:[0,0,1]
	v_mov_b32_e32 v103, v125
	v_mov_b32_e32 v125, v123
	v_pk_fma_f32 v[134:135], v[176:177], s[22:23], v[126:127] op_sel:[0,0,1] op_sel_hi:[1,0,0]
	v_pk_fma_f32 v[126:127], v[176:177], s[22:23], v[126:127] op_sel:[0,0,1] op_sel_hi:[1,0,0] neg_lo:[0,0,1] neg_hi:[0,0,1]
	v_accvgpr_write_b32 a16, v28
	v_pk_fma_f32 v[58:59], v[144:145], s[22:23], v[54:55] op_sel:[0,0,1] op_sel_hi:[1,0,0]
	v_pk_fma_f32 v[28:29], v[144:145], s[22:23], v[54:55] op_sel:[0,0,1] op_sel_hi:[1,0,0] neg_lo:[0,0,1] neg_hi:[0,0,1]
	v_accvgpr_write_b32 a31, v109
	v_mov_b32_e32 v109, v107
	s_mov_b32 s50, 0x3f763a35
	v_pk_add_f32 v[132:133], v[64:65], v[124:125]
	v_mov_b32_e32 v107, v135
	v_mov_b32_e32 v135, v127
	s_mov_b32 s46, 0x3e3c28d5
	v_accvgpr_write_b32 a17, v59
	v_mov_b32_e32 v59, v29
	s_mov_b32 s30, 0xbf06c442
	v_pk_mul_f32 v[110:111], v[146:147], s[50:51] op_sel_hi:[1,0]
	v_pk_add_f32 v[138:139], v[134:135], v[132:133]
	v_pk_mul_f32 v[134:135], v[174:175], s[46:47] op_sel_hi:[1,0]
	v_pk_add_f32 v[60:61], v[58:59], v[56:57]
	v_pk_mul_f32 v[58:59], v[142:143], s[30:31] op_sel_hi:[1,0]
	v_pk_fma_f32 v[112:113], v[144:145], s[18:19], v[110:111] op_sel:[0,0,1] op_sel_hi:[1,0,0]
	v_pk_fma_f32 v[110:111], v[144:145], s[18:19], v[110:111] op_sel:[0,0,1] op_sel_hi:[1,0,0] neg_lo:[0,0,1] neg_hi:[0,0,1]
	v_pk_fma_f32 v[140:141], v[168:169], s[34:35], v[134:135] op_sel:[0,0,1] op_sel_hi:[1,0,0]
	v_pk_fma_f32 v[134:135], v[168:169], s[34:35], v[134:135] op_sel:[0,0,1] op_sel_hi:[1,0,0] neg_lo:[0,0,1] neg_hi:[0,0,1]
	v_accvgpr_write_b32 a18, v28
	v_pk_fma_f32 v[62:63], v[136:137], s[28:29], v[58:59] op_sel:[0,0,1] op_sel_hi:[1,0,0]
	v_pk_fma_f32 v[28:29], v[136:137], s[28:29], v[58:59] op_sel:[0,0,1] op_sel_hi:[1,0,0] neg_lo:[0,0,1] neg_hi:[0,0,1]
	v_accvgpr_write_b32 a33, v113
	v_mov_b32_e32 v113, v111
	s_mov_b32 s42, 0x3f65296c
	v_mov_b32_e32 v111, v141
	v_mov_b32_e32 v141, v135
	v_accvgpr_write_b32 a19, v63
	v_mov_b32_e32 v63, v29
	v_pk_mul_f32 v[114:115], v[142:143], s[42:43] op_sel_hi:[1,0]
	v_pk_add_f32 v[148:149], v[140:141], v[138:139]
	v_pk_mul_f32 v[140:141], v[166:167], s[50:51] op_sel_hi:[1,0]
	v_pk_add_f32 v[88:89], v[62:63], v[60:61]
	v_pk_mul_f32 v[62:63], v[130:131], s[36:37] op_sel_hi:[1,0]
	v_pk_fma_f32 v[116:117], v[136:137], s[10:11], v[114:115] op_sel:[0,0,1] op_sel_hi:[1,0,0]
	v_pk_fma_f32 v[114:115], v[136:137], s[10:11], v[114:115] op_sel:[0,0,1] op_sel_hi:[1,0,0] neg_lo:[0,0,1] neg_hi:[0,0,1]
	v_pk_fma_f32 v[150:151], v[160:161], s[18:19], v[140:141] op_sel:[0,0,1] op_sel_hi:[1,0,0]
	v_pk_fma_f32 v[140:141], v[160:161], s[18:19], v[140:141] op_sel:[0,0,1] op_sel_hi:[1,0,0] neg_lo:[0,0,1] neg_hi:[0,0,1]
	v_accvgpr_write_b32 a20, v28
	v_pk_fma_f32 v[90:91], v[128:129], s[34:35], v[62:63] op_sel:[0,0,1] op_sel_hi:[1,0,0]
	v_pk_fma_f32 v[28:29], v[128:129], s[34:35], v[62:63] op_sel:[0,0,1] op_sel_hi:[1,0,0] neg_lo:[0,0,1] neg_hi:[0,0,1]
	v_accvgpr_write_b32 a35, v117
	v_mov_b32_e32 v117, v115
	v_mov_b32_e32 v115, v151
	;; [unrolled: 1-line block ×3, first 2 shown]
	s_mov_b32 s46, 0x3f2c7751
	v_accvgpr_write_b32 a21, v91
	v_mov_b32_e32 v91, v29
	v_pk_add_f32 v[154:155], v[150:151], v[148:149]
	v_pk_mul_f32 v[150:151], v[158:159], s[46:47] op_sel_hi:[1,0]
	v_pk_add_f32 v[88:89], v[90:91], v[88:89]
	v_pk_fma_f32 v[148:149], v[152:153], s[14:15], v[150:151] op_sel:[0,0,1] op_sel_hi:[1,0,0]
	v_pk_fma_f32 v[150:151], v[152:153], s[14:15], v[150:151] op_sel:[0,0,1] op_sel_hi:[1,0,0] neg_lo:[0,0,1] neg_hi:[0,0,1]
	ds_write2_b64 v92, v[50:51], v[88:89] offset1:1
	v_pk_mul_f32 v[50:51], v[182:183], s[40:41] op_sel_hi:[1,0]
	v_mov_b32_e32 v156, v148
	v_mov_b32_e32 v157, v151
	v_accvgpr_write_b32 a22, v28
	v_pk_fma_f32 v[28:29], v[180:181], s[14:15], v[50:51] op_sel:[0,0,1] op_sel_hi:[1,0,0]
	v_pk_fma_f32 v[30:31], v[180:181], s[14:15], v[50:51] op_sel:[0,0,1] op_sel_hi:[1,0,0] neg_lo:[0,0,1] neg_hi:[0,0,1]
	v_pk_mul_f32 v[94:95], v[178:179], s[38:39] op_sel_hi:[1,0]
	v_pk_add_f32 v[162:163], v[156:157], v[154:155]
	v_pk_mul_f32 v[156:157], v[146:147], s[26:27] op_sel_hi:[1,0]
	v_mov_b32_e32 v50, v28
	v_accvgpr_write_b32 a23, v29
	v_mov_b32_e32 v51, v31
	v_pk_fma_f32 v[96:97], v[176:177], s[6:7], v[94:95] op_sel:[0,0,1] op_sel_hi:[1,0,0]
	v_pk_fma_f32 v[28:29], v[176:177], s[6:7], v[94:95] op_sel:[0,0,1] op_sel_hi:[1,0,0] neg_lo:[0,0,1] neg_hi:[0,0,1]
	v_pk_mul_f32 v[98:99], v[174:175], s[24:25] op_sel_hi:[1,0]
	v_pk_fma_f32 v[154:155], v[144:145], s[16:17], v[156:157] op_sel:[0,0,1] op_sel_hi:[1,0,0]
	v_pk_fma_f32 v[156:157], v[144:145], s[16:17], v[156:157] op_sel:[0,0,1] op_sel_hi:[1,0,0] neg_lo:[0,0,1] neg_hi:[0,0,1]
	v_pk_add_f32 v[50:51], v[64:65], v[50:51]
	v_accvgpr_write_b32 a25, v97
	v_mov_b32_e32 v97, v29
	v_pk_fma_f32 v[100:101], v[168:169], s[22:23], v[98:99] op_sel:[0,0,1] op_sel_hi:[1,0,0]
	v_pk_fma_f32 v[98:99], v[168:169], s[22:23], v[98:99] op_sel:[0,0,1] op_sel_hi:[1,0,0] neg_lo:[0,0,1] neg_hi:[0,0,1]
	v_mov_b32_e32 v164, v154
	v_mov_b32_e32 v165, v157
	v_pk_add_f32 v[50:51], v[96:97], v[50:51]
	v_accvgpr_write_b32 a27, v101
	v_mov_b32_e32 v101, v99
	v_pk_add_f32 v[170:171], v[164:165], v[162:163]
	v_pk_mul_f32 v[164:165], v[142:143], s[38:39] op_sel_hi:[1,0]
	v_pk_add_f32 v[50:51], v[100:101], v[50:51]
	v_pk_fma_f32 v[162:163], v[136:137], s[6:7], v[164:165] op_sel:[0,0,1] op_sel_hi:[1,0,0]
	v_pk_fma_f32 v[164:165], v[136:137], s[6:7], v[164:165] op_sel:[0,0,1] op_sel_hi:[1,0,0] neg_lo:[0,0,1] neg_hi:[0,0,1]
	v_pk_add_f32 v[50:51], v[104:105], v[50:51]
	s_mov_b32 s44, 0x3eb8f4ab
	v_mov_b32_e32 v172, v162
	v_mov_b32_e32 v173, v165
	v_pk_add_f32 v[50:51], v[108:109], v[50:51]
	v_pk_mul_f32 v[118:119], v[130:131], s[44:45] op_sel_hi:[1,0]
	v_pk_add_f32 v[184:185], v[172:173], v[170:171]
	v_pk_mul_f32 v[172:173], v[130:131], s[30:31] op_sel_hi:[1,0]
	v_pk_add_f32 v[50:51], v[112:113], v[50:51]
	v_pk_fma_f32 v[120:121], v[128:129], s[16:17], v[118:119] op_sel:[0,0,1] op_sel_hi:[1,0,0]
	v_pk_fma_f32 v[118:119], v[128:129], s[16:17], v[118:119] op_sel:[0,0,1] op_sel_hi:[1,0,0] neg_lo:[0,0,1] neg_hi:[0,0,1]
	v_pk_fma_f32 v[170:171], v[128:129], s[28:29], v[172:173] op_sel:[0,0,1] op_sel_hi:[1,0,0]
	v_pk_fma_f32 v[172:173], v[128:129], s[28:29], v[172:173] op_sel:[0,0,1] op_sel_hi:[1,0,0] neg_lo:[0,0,1] neg_hi:[0,0,1]
	v_pk_add_f32 v[50:51], v[116:117], v[50:51]
	v_accvgpr_write_b32 a37, v121
	v_mov_b32_e32 v121, v119
	v_mov_b32_e32 v186, v170
	;; [unrolled: 1-line block ×3, first 2 shown]
	v_pk_add_f32 v[50:51], v[120:121], v[50:51]
	v_pk_add_f32 v[184:185], v[186:187], v[184:185]
	ds_write2_b64 v92, v[50:51], v[184:185] offset0:2 offset1:3
	v_pk_mul_f32 v[50:51], v[182:183], s[38:39] op_sel_hi:[1,0]
	v_pk_mul_f32 v[190:191], v[178:179], s[36:37] op_sel_hi:[1,0]
	v_pk_fma_f32 v[184:185], v[180:181], s[6:7], v[50:51] op_sel:[0,0,1] op_sel_hi:[1,0,0]
	v_pk_fma_f32 v[186:187], v[180:181], s[6:7], v[50:51] op_sel:[0,0,1] op_sel_hi:[1,0,0] neg_lo:[0,0,1] neg_hi:[0,0,1]
	v_mov_b32_e32 v50, v184
	v_mov_b32_e32 v51, v187
	v_pk_fma_f32 v[138:139], v[176:177], s[34:35], v[190:191] op_sel:[0,0,1] op_sel_hi:[1,0,0]
	v_pk_fma_f32 v[190:191], v[176:177], s[34:35], v[190:191] op_sel:[0,0,1] op_sel_hi:[1,0,0] neg_lo:[0,0,1] neg_hi:[0,0,1]
	v_pk_add_f32 v[50:51], v[64:65], v[50:51]
	v_mov_b32_e32 v192, v138
	v_mov_b32_e32 v193, v191
	v_pk_mul_f32 v[194:195], v[174:175], s[50:51] op_sel_hi:[1,0]
	v_pk_add_f32 v[50:51], v[192:193], v[50:51]
	v_pk_fma_f32 v[192:193], v[168:169], s[18:19], v[194:195] op_sel:[0,0,1] op_sel_hi:[1,0,0]
	v_pk_fma_f32 v[194:195], v[168:169], s[18:19], v[194:195] op_sel:[0,0,1] op_sel_hi:[1,0,0] neg_lo:[0,0,1] neg_hi:[0,0,1]
	v_mov_b32_e32 v196, v192
	v_mov_b32_e32 v197, v195
	v_pk_mul_f32 v[198:199], v[166:167], s[44:45] op_sel_hi:[1,0]
	v_pk_add_f32 v[50:51], v[196:197], v[50:51]
	v_pk_fma_f32 v[196:197], v[160:161], s[16:17], v[198:199] op_sel:[0,0,1] op_sel_hi:[1,0,0]
	v_pk_fma_f32 v[198:199], v[160:161], s[16:17], v[198:199] op_sel:[0,0,1] op_sel_hi:[1,0,0] neg_lo:[0,0,1] neg_hi:[0,0,1]
	;; [unrolled: 6-line block ×6, first 2 shown]
	v_mov_b32_e32 v216, v212
	v_mov_b32_e32 v217, v215
	v_pk_add_f32 v[254:255], v[216:217], v[50:51]
	v_pk_mul_f32 v[216:217], v[182:183], s[20:21] op_sel_hi:[1,0]
	v_pk_mul_f32 v[220:221], v[178:179], s[52:53] op_sel_hi:[1,0]
	v_pk_fma_f32 v[132:133], v[180:181], s[18:19], v[216:217] op_sel:[0,0,1] op_sel_hi:[1,0,0]
	v_pk_fma_f32 v[216:217], v[180:181], s[18:19], v[216:217] op_sel:[0,0,1] op_sel_hi:[1,0,0] neg_lo:[0,0,1] neg_hi:[0,0,1]
	v_mov_b32_e32 v218, v132
	v_mov_b32_e32 v219, v217
	v_pk_add_f32 v[222:223], v[64:65], v[218:219]
	v_pk_fma_f32 v[218:219], v[176:177], s[28:29], v[220:221] op_sel:[0,0,1] op_sel_hi:[1,0,0]
	v_pk_fma_f32 v[220:221], v[176:177], s[28:29], v[220:221] op_sel:[0,0,1] op_sel_hi:[1,0,0] neg_lo:[0,0,1] neg_hi:[0,0,1]
	v_mov_b32_e32 v224, v218
	v_mov_b32_e32 v225, v221
	v_pk_add_f32 v[226:227], v[224:225], v[222:223]
	v_pk_mul_f32 v[224:225], v[174:175], s[46:47] op_sel_hi:[1,0]
	v_pk_mul_f32 v[250:251], v[178:179], s[50:51] op_sel_hi:[1,0]
	v_pk_fma_f32 v[222:223], v[168:169], s[14:15], v[224:225] op_sel:[0,0,1] op_sel_hi:[1,0,0]
	v_pk_fma_f32 v[224:225], v[168:169], s[14:15], v[224:225] op_sel:[0,0,1] op_sel_hi:[1,0,0] neg_lo:[0,0,1] neg_hi:[0,0,1]
	v_mov_b32_e32 v228, v222
	v_mov_b32_e32 v229, v225
	v_pk_add_f32 v[230:231], v[228:229], v[226:227]
	v_pk_mul_f32 v[228:229], v[166:167], s[48:49] op_sel_hi:[1,0]
	s_mov_b32 s48, 0x3f7ee86f
	v_pk_fma_f32 v[226:227], v[160:161], s[10:11], v[228:229] op_sel:[0,0,1] op_sel_hi:[1,0,0]
	v_pk_fma_f32 v[228:229], v[160:161], s[10:11], v[228:229] op_sel:[0,0,1] op_sel_hi:[1,0,0] neg_lo:[0,0,1] neg_hi:[0,0,1]
	v_mov_b32_e32 v232, v226
	v_mov_b32_e32 v233, v229
	v_pk_add_f32 v[234:235], v[232:233], v[230:231]
	v_pk_mul_f32 v[232:233], v[158:159], s[36:37] op_sel_hi:[1,0]
	v_pk_fma_f32 v[120:121], v[176:177], s[18:19], v[250:251] op_sel:[0,0,1] op_sel_hi:[1,0,0]
	v_pk_fma_f32 v[230:231], v[152:153], s[34:35], v[232:233] op_sel:[0,0,1] op_sel_hi:[1,0,0]
	v_pk_fma_f32 v[232:233], v[152:153], s[34:35], v[232:233] op_sel:[0,0,1] op_sel_hi:[1,0,0] neg_lo:[0,0,1] neg_hi:[0,0,1]
	v_mov_b32_e32 v236, v230
	v_mov_b32_e32 v237, v233
	v_pk_add_f32 v[238:239], v[236:237], v[234:235]
	v_pk_mul_f32 v[236:237], v[146:147], s[48:49] op_sel_hi:[1,0]
	v_pk_fma_f32 v[250:251], v[176:177], s[18:19], v[250:251] op_sel:[0,0,1] op_sel_hi:[1,0,0] neg_lo:[0,0,1] neg_hi:[0,0,1]
	v_pk_fma_f32 v[234:235], v[144:145], s[6:7], v[236:237] op_sel:[0,0,1] op_sel_hi:[1,0,0]
	v_pk_fma_f32 v[236:237], v[144:145], s[6:7], v[236:237] op_sel:[0,0,1] op_sel_hi:[1,0,0] neg_lo:[0,0,1] neg_hi:[0,0,1]
	v_mov_b32_e32 v240, v234
	v_mov_b32_e32 v241, v237
	v_pk_add_f32 v[242:243], v[240:241], v[238:239]
	v_pk_mul_f32 v[240:241], v[142:143], s[26:27] op_sel_hi:[1,0]
	v_accvgpr_write_b32 a26, v28
	v_pk_fma_f32 v[238:239], v[136:137], s[16:17], v[240:241] op_sel:[0,0,1] op_sel_hi:[1,0,0]
	v_pk_fma_f32 v[240:241], v[136:137], s[16:17], v[240:241] op_sel:[0,0,1] op_sel_hi:[1,0,0] neg_lo:[0,0,1] neg_hi:[0,0,1]
	v_mov_b32_e32 v244, v238
	v_mov_b32_e32 v245, v241
	v_pk_add_f32 v[248:249], v[244:245], v[242:243]
	v_pk_mul_f32 v[244:245], v[130:131], s[24:25] op_sel_hi:[1,0]
	v_mov_b32_e32 v28, v120
	v_pk_fma_f32 v[124:125], v[128:129], s[22:23], v[244:245] op_sel:[0,0,1] op_sel_hi:[1,0,0]
	v_pk_fma_f32 v[244:245], v[128:129], s[22:23], v[244:245] op_sel:[0,0,1] op_sel_hi:[1,0,0] neg_lo:[0,0,1] neg_hi:[0,0,1]
	v_mov_b32_e32 v242, v124
	v_mov_b32_e32 v243, v245
	v_pk_add_f32 v[242:243], v[242:243], v[248:249]
	ds_write2_b64 v92, v[254:255], v[242:243] offset0:4 offset1:5
	v_pk_mul_f32 v[242:243], v[182:183], s[24:25] op_sel_hi:[1,0]
	v_mov_b32_e32 v29, v251
	v_pk_fma_f32 v[248:249], v[180:181], s[22:23], v[242:243] op_sel:[0,0,1] op_sel_hi:[1,0,0]
	v_pk_fma_f32 v[242:243], v[180:181], s[22:23], v[242:243] op_sel:[0,0,1] op_sel_hi:[1,0,0] neg_lo:[0,0,1] neg_hi:[0,0,1]
	v_mov_b32_e32 v254, v248
	v_mov_b32_e32 v255, v243
	v_pk_add_f32 v[254:255], v[64:65], v[254:255]
	v_pk_mul_f32 v[246:247], v[178:179], s[42:43] op_sel_hi:[1,0]
	v_pk_add_f32 v[28:29], v[28:29], v[254:255]
	v_pk_mul_f32 v[254:255], v[174:175], s[26:27] op_sel_hi:[1,0]
	v_accvgpr_write_b32 a24, v30
	v_pk_fma_f32 v[116:117], v[168:169], s[16:17], v[254:255] op_sel:[0,0,1] op_sel_hi:[1,0,0]
	v_pk_fma_f32 v[254:255], v[168:169], s[16:17], v[254:255] op_sel:[0,0,1] op_sel_hi:[1,0,0] neg_lo:[0,0,1] neg_hi:[0,0,1]
	v_mov_b32_e32 v188, v116
	v_mov_b32_e32 v189, v255
	v_pk_add_f32 v[28:29], v[188:189], v[28:29]
	v_pk_mul_f32 v[188:189], v[166:167], s[30:31] op_sel_hi:[1,0]
	v_mov_b32_e32 v99, v92
	v_pk_fma_f32 v[112:113], v[160:161], s[28:29], v[188:189] op_sel:[0,0,1] op_sel_hi:[1,0,0]
	v_pk_fma_f32 v[188:189], v[160:161], s[28:29], v[188:189] op_sel:[0,0,1] op_sel_hi:[1,0,0] neg_lo:[0,0,1] neg_hi:[0,0,1]
	v_mov_b32_e32 v32, v112
	v_mov_b32_e32 v33, v189
	v_pk_add_f32 v[28:29], v[32:33], v[28:29]
	v_pk_mul_f32 v[32:33], v[158:159], s[48:49] op_sel_hi:[1,0]
	v_pk_fma_f32 v[92:93], v[176:177], s[10:11], v[246:247] op_sel:[0,0,1] op_sel_hi:[1,0,0]
	v_pk_fma_f32 v[108:109], v[152:153], s[6:7], v[32:33] op_sel:[0,0,1] op_sel_hi:[1,0,0]
	v_pk_fma_f32 v[32:33], v[152:153], s[6:7], v[32:33] op_sel:[0,0,1] op_sel_hi:[1,0,0] neg_lo:[0,0,1] neg_hi:[0,0,1]
	v_mov_b32_e32 v36, v108
	v_mov_b32_e32 v37, v33
	v_pk_add_f32 v[28:29], v[36:37], v[28:29]
	v_pk_mul_f32 v[36:37], v[146:147], s[40:41] op_sel_hi:[1,0]
	v_pk_fma_f32 v[246:247], v[176:177], s[10:11], v[246:247] op_sel:[0,0,1] op_sel_hi:[1,0,0] neg_lo:[0,0,1] neg_hi:[0,0,1]
	v_pk_fma_f32 v[104:105], v[144:145], s[14:15], v[36:37] op_sel:[0,0,1] op_sel_hi:[1,0,0]
	v_pk_fma_f32 v[36:37], v[144:145], s[14:15], v[36:37] op_sel:[0,0,1] op_sel_hi:[1,0,0] neg_lo:[0,0,1] neg_hi:[0,0,1]
	v_mov_b32_e32 v40, v104
	v_mov_b32_e32 v41, v37
	v_pk_add_f32 v[28:29], v[40:41], v[28:29]
	v_pk_mul_f32 v[40:41], v[142:143], s[36:37] op_sel_hi:[1,0]
	v_mov_b32_e32 v34, v92
	v_pk_fma_f32 v[100:101], v[136:137], s[34:35], v[40:41] op_sel:[0,0,1] op_sel_hi:[1,0,0]
	v_pk_fma_f32 v[40:41], v[136:137], s[34:35], v[40:41] op_sel:[0,0,1] op_sel_hi:[1,0,0] neg_lo:[0,0,1] neg_hi:[0,0,1]
	v_mov_b32_e32 v48, v100
	v_mov_b32_e32 v49, v41
	v_pk_add_f32 v[28:29], v[48:49], v[28:29]
	v_pk_mul_f32 v[48:49], v[130:131], s[42:43] op_sel_hi:[1,0]
	v_mov_b32_e32 v35, v247
	;; [unrolled: 7-line block ×3, first 2 shown]
	v_pk_fma_f32 v[94:95], v[180:181], s[28:29], v[44:45] op_sel:[0,0,1] op_sel_hi:[1,0,0]
	v_pk_fma_f32 v[44:45], v[180:181], s[28:29], v[44:45] op_sel:[0,0,1] op_sel_hi:[1,0,0] neg_lo:[0,0,1] neg_hi:[0,0,1]
	v_mov_b32_e32 v30, v94
	v_mov_b32_e32 v31, v45
	v_pk_add_f32 v[30:31], v[64:65], v[30:31]
	v_mov_b32_e32 v45, v95
	v_pk_add_f32 v[30:31], v[34:35], v[30:31]
	v_pk_mul_f32 v[34:35], v[174:175], s[38:39] op_sel_hi:[1,0]
	v_pk_mul_f32 v[174:175], v[174:175], s[30:31] op_sel_hi:[1,0]
	v_pk_fma_f32 v[90:91], v[168:169], s[6:7], v[34:35] op_sel:[0,0,1] op_sel_hi:[1,0,0]
	v_pk_fma_f32 v[34:35], v[168:169], s[6:7], v[34:35] op_sel:[0,0,1] op_sel_hi:[1,0,0] neg_lo:[0,0,1] neg_hi:[0,0,1]
	v_mov_b32_e32 v38, v90
	v_mov_b32_e32 v39, v35
	v_pk_add_f32 v[30:31], v[38:39], v[30:31]
	v_pk_mul_f32 v[38:39], v[166:167], s[54:55] op_sel_hi:[1,0]
	v_pk_mul_f32 v[166:167], v[166:167], s[46:47] op_sel_hi:[1,0]
	v_pk_fma_f32 v[88:89], v[160:161], s[22:23], v[38:39] op_sel:[0,0,1] op_sel_hi:[1,0,0]
	v_pk_fma_f32 v[38:39], v[160:161], s[22:23], v[38:39] op_sel:[0,0,1] op_sel_hi:[1,0,0] neg_lo:[0,0,1] neg_hi:[0,0,1]
	v_mov_b32_e32 v42, v88
	;; [unrolled: 7-line block ×6, first 2 shown]
	v_mov_b32_e32 v55, v53
	v_pk_add_f32 v[30:31], v[54:55], v[30:31]
	ds_write2_b64 v99, v[28:29], v[30:31] offset0:6 offset1:7
	v_pk_mul_f32 v[28:29], v[182:183], s[36:37] op_sel_hi:[1,0]
	v_pk_mul_f32 v[54:55], v[178:179], s[44:45] op_sel_hi:[1,0]
	v_pk_fma_f32 v[30:31], v[180:181], s[34:35], v[28:29] op_sel:[0,0,1] op_sel_hi:[1,0,0]
	v_pk_fma_f32 v[28:29], v[180:181], s[34:35], v[28:29] op_sel:[0,0,1] op_sel_hi:[1,0,0] neg_lo:[0,0,1] neg_hi:[0,0,1]
	v_pk_fma_f32 v[178:179], v[176:177], s[16:17], v[54:55] op_sel:[0,0,1] op_sel_hi:[1,0,0]
	v_pk_fma_f32 v[54:55], v[176:177], s[16:17], v[54:55] op_sel:[0,0,1] op_sel_hi:[1,0,0] neg_lo:[0,0,1] neg_hi:[0,0,1]
	v_mov_b32_e32 v176, v30
	v_mov_b32_e32 v177, v29
	v_pk_add_f32 v[176:177], v[64:65], v[176:177]
	v_mov_b32_e32 v180, v178
	v_mov_b32_e32 v181, v55
	v_pk_add_f32 v[176:177], v[180:181], v[176:177]
	v_pk_fma_f32 v[180:181], v[168:169], s[28:29], v[174:175] op_sel:[0,0,1] op_sel_hi:[1,0,0]
	v_pk_fma_f32 v[168:169], v[168:169], s[28:29], v[174:175] op_sel:[0,0,1] op_sel_hi:[1,0,0] neg_lo:[0,0,1] neg_hi:[0,0,1]
	v_mov_b32_e32 v174, v180
	v_mov_b32_e32 v175, v169
	v_pk_add_f32 v[174:175], v[174:175], v[176:177]
	v_pk_fma_f32 v[176:177], v[160:161], s[14:15], v[166:167] op_sel:[0,0,1] op_sel_hi:[1,0,0]
	v_pk_fma_f32 v[160:161], v[160:161], s[14:15], v[166:167] op_sel:[0,0,1] op_sel_hi:[1,0,0] neg_lo:[0,0,1] neg_hi:[0,0,1]
	;; [unrolled: 5-line block ×3, first 2 shown]
	v_mov_b32_e32 v29, v31
	v_mov_b32_e32 v158, v174
	;; [unrolled: 1-line block ×4, first 2 shown]
	v_pk_add_f32 v[28:29], v[64:65], v[28:29]
	v_pk_add_f32 v[158:159], v[158:159], v[166:167]
	v_pk_fma_f32 v[166:167], v[144:145], s[10:11], v[146:147] op_sel:[0,0,1] op_sel_hi:[1,0,0]
	v_pk_fma_f32 v[144:145], v[144:145], s[10:11], v[146:147] op_sel:[0,0,1] op_sel_hi:[1,0,0] neg_lo:[0,0,1] neg_hi:[0,0,1]
	v_pk_add_f32 v[28:29], v[54:55], v[28:29]
	v_mov_b32_e32 v169, v181
	v_mov_b32_e32 v146, v166
	v_mov_b32_e32 v147, v145
	v_pk_add_f32 v[28:29], v[168:169], v[28:29]
	v_mov_b32_e32 v161, v177
	v_pk_add_f32 v[146:147], v[146:147], v[158:159]
	v_pk_fma_f32 v[158:159], v[136:137], s[18:19], v[142:143] op_sel:[0,0,1] op_sel_hi:[1,0,0]
	v_pk_fma_f32 v[136:137], v[136:137], s[18:19], v[142:143] op_sel:[0,0,1] op_sel_hi:[1,0,0] neg_lo:[0,0,1] neg_hi:[0,0,1]
	v_pk_add_f32 v[28:29], v[160:161], v[28:29]
	v_mov_b32_e32 v153, v175
	v_mov_b32_e32 v142, v158
	v_mov_b32_e32 v143, v137
	v_pk_add_f32 v[28:29], v[152:153], v[28:29]
	v_mov_b32_e32 v145, v167
	;; [unrolled: 9-line block ×3, first 2 shown]
	v_pk_add_f32 v[130:131], v[130:131], v[142:143]
	v_pk_add_f32 v[28:29], v[128:129], v[28:29]
	ds_write2_b64 v99, v[130:131], v[28:29] offset0:8 offset1:9
	v_pk_add_f32 v[28:29], v[64:65], v[44:45]
	v_mov_b32_e32 v247, v93
	v_pk_add_f32 v[30:31], v[64:65], v[242:243]
	v_mov_b32_e32 v251, v121
	;; [unrolled: 2-line block ×14, first 2 shown]
	v_pk_add_f32 v[28:29], v[52:53], v[28:29]
	v_pk_add_f32 v[30:31], v[48:49], v[30:31]
	v_mov_b32_e32 v217, v133
	v_mov_b32_e32 v187, v185
	ds_write2_b64 v99, v[28:29], v[30:31] offset0:10 offset1:11
	v_pk_add_f32 v[28:29], v[64:65], v[216:217]
	v_mov_b32_e32 v221, v219
	v_pk_add_f32 v[30:31], v[64:65], v[186:187]
	v_mov_b32_e32 v191, v139
	v_pk_add_f32 v[28:29], v[220:221], v[28:29]
	v_mov_b32_e32 v225, v223
	v_pk_add_f32 v[30:31], v[190:191], v[30:31]
	v_mov_b32_e32 v195, v193
	v_pk_add_f32 v[28:29], v[224:225], v[28:29]
	v_mov_b32_e32 v229, v227
	v_pk_add_f32 v[30:31], v[194:195], v[30:31]
	v_mov_b32_e32 v199, v197
	v_pk_add_f32 v[28:29], v[228:229], v[28:29]
	v_mov_b32_e32 v233, v231
	v_pk_add_f32 v[30:31], v[198:199], v[30:31]
	v_mov_b32_e32 v203, v201
	v_pk_add_f32 v[28:29], v[232:233], v[28:29]
	v_mov_b32_e32 v237, v235
	v_pk_add_f32 v[30:31], v[202:203], v[30:31]
	v_mov_b32_e32 v207, v205
	v_pk_add_f32 v[28:29], v[236:237], v[28:29]
	v_mov_b32_e32 v241, v239
	v_pk_add_f32 v[30:31], v[206:207], v[30:31]
	v_mov_b32_e32 v211, v209
	v_pk_add_f32 v[28:29], v[240:241], v[28:29]
	v_mov_b32_e32 v245, v125
	v_pk_add_f32 v[30:31], v[210:211], v[30:31]
	v_mov_b32_e32 v215, v213
	v_pk_add_f32 v[28:29], v[244:245], v[28:29]
	v_pk_add_f32 v[30:31], v[214:215], v[30:31]
	ds_write2_b64 v99, v[28:29], v[30:31] offset0:12 offset1:13
	v_mov_b32_e32 v123, v103
	v_accvgpr_read_b32 v30, a24
	v_accvgpr_read_b32 v31, a23
	v_pk_add_f32 v[28:29], v[64:65], v[122:123]
	v_mov_b32_e32 v127, v107
	v_pk_add_f32 v[30:31], v[64:65], v[30:31]
	v_accvgpr_read_b32 v32, a26
	v_accvgpr_read_b32 v33, a25
	v_mov_b32_e32 v54, v99
	v_pk_add_f32 v[28:29], v[126:127], v[28:29]
	v_mov_b32_e32 v135, v111
	v_pk_add_f32 v[30:31], v[32:33], v[30:31]
	v_accvgpr_read_b32 v99, a27
	v_pk_add_f32 v[28:29], v[134:135], v[28:29]
	v_mov_b32_e32 v141, v115
	v_pk_add_f32 v[30:31], v[98:99], v[30:31]
	v_accvgpr_read_b32 v103, a29
	;; [unrolled: 4-line block ×6, first 2 shown]
	v_pk_add_f32 v[28:29], v[172:173], v[28:29]
	v_pk_add_f32 v[30:31], v[118:119], v[30:31]
	ds_write2_b64 v54, v[28:29], v[30:31] offset0:14 offset1:15
	v_accvgpr_read_b32 v28, a8
	v_accvgpr_read_b32 v29, a7
	v_pk_add_f32 v[28:29], v[64:65], v[28:29]
	v_accvgpr_read_b32 v30, a10
	v_accvgpr_read_b32 v31, a9
	v_pk_add_f32 v[28:29], v[30:31], v[28:29]
	v_accvgpr_read_b32 v30, a12
	v_accvgpr_read_b32 v31, a11
	v_pk_add_f32 v[28:29], v[30:31], v[28:29]
	v_accvgpr_read_b32 v30, a14
	v_accvgpr_read_b32 v31, a13
	v_pk_add_f32 v[28:29], v[30:31], v[28:29]
	v_accvgpr_read_b32 v30, a16
	v_accvgpr_read_b32 v31, a15
	v_pk_add_f32 v[28:29], v[30:31], v[28:29]
	v_accvgpr_read_b32 v30, a18
	v_accvgpr_read_b32 v31, a17
	v_pk_add_f32 v[28:29], v[30:31], v[28:29]
	v_accvgpr_read_b32 v30, a20
	v_accvgpr_read_b32 v31, a19
	v_pk_add_f32 v[28:29], v[30:31], v[28:29]
	v_accvgpr_read_b32 v30, a22
	v_accvgpr_read_b32 v31, a21
	;; [unrolled: 1-line block ×8, first 2 shown]
	v_pk_add_f32 v[28:29], v[30:31], v[28:29]
	ds_write_b64 v54, v[28:29] offset:128
.LBB0_13:
	s_or_b64 exec, exec, s[4:5]
	s_waitcnt lgkmcnt(0)
	s_barrier
	ds_read2_b64 v[28:31], v252 offset0:204 offset1:255
	ds_read2_b64 v[32:35], v252 offset0:102 offset1:153
	ds_read_b64 v[36:37], v252 offset:3264
	v_add_u32_e32 v46, 0x800, v252
	s_mov_b32 s4, 0x3f5db3d7
	s_waitcnt lgkmcnt(2)
	v_pk_mul_f32 v[8:9], v[8:9], v[30:31]
	v_pk_mul_f32 v[4:5], v[4:5], v[28:29]
	v_pk_fma_f32 v[40:41], v[86:87], v[30:31], v[8:9] op_sel:[0,0,1] op_sel_hi:[1,1,0]
	v_pk_fma_f32 v[8:9], v[86:87], v[30:31], v[8:9] op_sel:[0,0,1] op_sel_hi:[1,1,0] neg_lo:[0,0,1] neg_hi:[0,0,1]
	s_waitcnt lgkmcnt(1)
	v_pk_mul_f32 v[0:1], v[0:1], v[34:35]
	v_mov_b32_e32 v41, v9
	s_waitcnt lgkmcnt(0)
	v_pk_mul_f32 v[8:9], v[10:11], v[36:37]
	v_pk_fma_f32 v[44:45], v[82:83], v[28:29], v[4:5] op_sel:[0,0,1] op_sel_hi:[1,1,0]
	v_pk_fma_f32 v[30:31], v[84:85], v[36:37], v[8:9] op_sel:[0,0,1] op_sel_hi:[1,1,0]
	v_pk_fma_f32 v[8:9], v[84:85], v[36:37], v[8:9] op_sel:[0,0,1] op_sel_hi:[1,1,0] neg_lo:[0,0,1] neg_hi:[0,0,1]
	ds_read2_b64 v[36:39], v46 offset0:50 offset1:101
	v_mov_b32_e32 v31, v9
	v_pk_add_f32 v[8:9], v[32:33], v[40:41]
	v_pk_fma_f32 v[4:5], v[82:83], v[28:29], v[4:5] op_sel:[0,0,1] op_sel_hi:[1,1,0] neg_lo:[0,0,1] neg_hi:[0,0,1]
	v_pk_add_f32 v[42:43], v[8:9], v[30:31]
	ds_read2_b64 v[8:11], v252 offset1:51
	v_pk_fma_f32 v[28:29], v[78:79], v[34:35], v[0:1] op_sel:[0,0,1] op_sel_hi:[1,1,0]
	v_pk_fma_f32 v[0:1], v[78:79], v[34:35], v[0:1] op_sel:[0,0,1] op_sel_hi:[1,1,0] neg_lo:[0,0,1] neg_hi:[0,0,1]
	v_mov_b32_e32 v45, v5
	v_mov_b32_e32 v29, v1
	s_waitcnt lgkmcnt(1)
	v_pk_mul_f32 v[0:1], v[2:3], v[36:37]
	v_pk_mul_f32 v[4:5], v[6:7], v[38:39]
	v_pk_fma_f32 v[2:3], v[76:77], v[36:37], v[0:1] op_sel:[0,0,1] op_sel_hi:[1,1,0]
	v_pk_fma_f32 v[0:1], v[76:77], v[36:37], v[0:1] op_sel:[0,0,1] op_sel_hi:[1,1,0] neg_lo:[0,0,1] neg_hi:[0,0,1]
	v_pk_fma_f32 v[6:7], v[80:81], v[38:39], v[4:5] op_sel:[0,0,1] op_sel_hi:[1,1,0]
	v_mov_b32_e32 v3, v1
	s_waitcnt lgkmcnt(0)
	v_pk_add_f32 v[0:1], v[8:9], v[28:29]
	v_pk_add_f32 v[34:35], v[28:29], v[2:3]
	;; [unrolled: 1-line block ×3, first 2 shown]
	v_pk_add_f32 v[2:3], v[28:29], v[2:3] neg_lo:[0,1] neg_hi:[0,1]
	v_pk_fma_f32 v[8:9], v[34:35], 0.5, v[8:9] op_sel_hi:[1,0,1] neg_lo:[1,0,0] neg_hi:[1,0,0]
	v_pk_mul_f32 v[2:3], v[2:3], s[4:5] op_sel_hi:[1,0]
	v_pk_fma_f32 v[4:5], v[80:81], v[38:39], v[4:5] op_sel:[0,0,1] op_sel_hi:[1,1,0] neg_lo:[0,0,1] neg_hi:[0,0,1]
	v_pk_add_f32 v[28:29], v[8:9], v[2:3] op_sel:[0,1] op_sel_hi:[1,0] neg_lo:[0,1] neg_hi:[0,1]
	v_pk_add_f32 v[2:3], v[8:9], v[2:3] op_sel:[0,1] op_sel_hi:[1,0]
	v_mov_b32_e32 v7, v5
	v_mov_b32_e32 v8, v28
	;; [unrolled: 1-line block ×4, first 2 shown]
	s_barrier
	ds_write2_b64 v130, v[0:1], v[8:9] offset1:17
	ds_write_b64 v130, v[2:3] offset:272
	v_pk_add_f32 v[0:1], v[44:45], v[6:7]
	v_pk_add_f32 v[2:3], v[44:45], v[6:7] neg_lo:[0,1] neg_hi:[0,1]
	v_pk_add_f32 v[4:5], v[10:11], v[44:45]
	v_pk_fma_f32 v[0:1], v[0:1], 0.5, v[10:11] op_sel_hi:[1,0,1] neg_lo:[1,0,0] neg_hi:[1,0,0]
	v_pk_mul_f32 v[2:3], v[2:3], s[4:5] op_sel_hi:[1,0]
	v_pk_add_f32 v[4:5], v[4:5], v[6:7]
	v_pk_add_f32 v[6:7], v[0:1], v[2:3] op_sel:[0,1] op_sel_hi:[1,0] neg_lo:[0,1] neg_hi:[0,1]
	v_pk_add_f32 v[0:1], v[0:1], v[2:3] op_sel:[0,1] op_sel_hi:[1,0]
	v_mov_b32_e32 v2, v6
	v_mov_b32_e32 v3, v1
	;; [unrolled: 1-line block ×3, first 2 shown]
	ds_write2_b64 v129, v[4:5], v[2:3] offset1:17
	ds_write_b64 v129, v[0:1] offset:272
	v_pk_add_f32 v[0:1], v[40:41], v[30:31]
	v_pk_add_f32 v[2:3], v[40:41], v[30:31] neg_lo:[0,1] neg_hi:[0,1]
	v_pk_fma_f32 v[0:1], v[0:1], 0.5, v[32:33] op_sel_hi:[1,0,1] neg_lo:[1,0,0] neg_hi:[1,0,0]
	v_pk_mul_f32 v[2:3], v[2:3], s[4:5] op_sel_hi:[1,0]
	s_mov_b32 s6, 0x3f248dbb
	v_pk_add_f32 v[4:5], v[0:1], v[2:3] op_sel:[0,1] op_sel_hi:[1,0] neg_lo:[0,1] neg_hi:[0,1]
	v_pk_add_f32 v[0:1], v[0:1], v[2:3] op_sel:[0,1] op_sel_hi:[1,0]
	v_mov_b32_e32 v2, v4
	v_mov_b32_e32 v3, v1
	;; [unrolled: 1-line block ×3, first 2 shown]
	ds_write2_b64 v128, v[42:43], v[2:3] offset1:17
	ds_write_b64 v128, v[0:1] offset:272
	s_waitcnt lgkmcnt(0)
	s_barrier
	ds_read2_b64 v[0:3], v252 offset1:51
	ds_read2_b64 v[4:7], v252 offset0:102 offset1:153
	ds_read2_b64 v[8:11], v252 offset0:204 offset1:255
	;; [unrolled: 1-line block ×3, first 2 shown]
	ds_read_b64 v[32:33], v252 offset:3264
	s_waitcnt lgkmcnt(4)
	v_pk_mul_f32 v[24:25], v[24:25], v[2:3]
	s_mov_b32 s7, 0x3f7c1c5c
	v_pk_fma_f32 v[34:35], v[72:73], v[2:3], v[24:25] op_sel:[0,0,1] op_sel_hi:[1,1,0]
	v_pk_fma_f32 v[2:3], v[72:73], v[2:3], v[24:25] op_sel:[0,0,1] op_sel_hi:[1,1,0] neg_lo:[0,0,1] neg_hi:[0,0,1]
	s_waitcnt lgkmcnt(3)
	v_pk_mul_f32 v[24:25], v[26:27], v[4:5]
	s_waitcnt lgkmcnt(0)
	v_pk_mul_f32 v[14:15], v[14:15], v[32:33]
	v_pk_fma_f32 v[26:27], v[70:71], v[4:5], v[24:25] op_sel:[0,0,1] op_sel_hi:[1,1,0]
	v_pk_fma_f32 v[4:5], v[70:71], v[4:5], v[24:25] op_sel:[0,0,1] op_sel_hi:[1,1,0] neg_lo:[0,0,1] neg_hi:[0,0,1]
	v_pk_mul_f32 v[24:25], v[20:21], v[6:7] op_sel:[1,0]
	v_mov_b32_e32 v27, v5
	v_pk_fma_f32 v[36:37], v[20:21], v[6:7], v[24:25] op_sel:[0,0,1] op_sel_hi:[1,1,0]
	v_pk_fma_f32 v[6:7], v[20:21], v[6:7], v[24:25] op_sel:[0,0,1] op_sel_hi:[0,1,0] neg_lo:[0,0,1] neg_hi:[0,0,1]
	v_mov_b32_e32 v37, v7
	v_pk_mul_f32 v[6:7], v[22:23], v[8:9]
	v_mov_b32_e32 v4, v5
	v_pk_fma_f32 v[20:21], v[74:75], v[8:9], v[6:7] op_sel:[0,0,1] op_sel_hi:[1,1,0]
	v_pk_fma_f32 v[6:7], v[74:75], v[8:9], v[6:7] op_sel:[0,0,1] op_sel_hi:[1,1,0] neg_lo:[0,0,1] neg_hi:[0,0,1]
	v_mov_b32_e32 v5, v34
	v_mov_b32_e32 v21, v7
	v_pk_mul_f32 v[6:7], v[16:17], v[10:11] op_sel:[1,0]
	v_mov_b32_e32 v35, v3
	v_pk_fma_f32 v[8:9], v[16:17], v[10:11], v[6:7] op_sel:[0,0,1] op_sel_hi:[1,1,0]
	v_pk_fma_f32 v[6:7], v[16:17], v[10:11], v[6:7] op_sel:[0,0,1] op_sel_hi:[0,1,0] neg_lo:[0,0,1] neg_hi:[0,0,1]
	v_mov_b32_e32 v9, v7
	v_pk_mul_f32 v[6:7], v[18:19], v[28:29] op_sel:[1,0]
	v_pk_fma_f32 v[16:17], v[66:67], v[32:33], v[14:15] op_sel:[0,0,1] op_sel_hi:[1,1,0]
	v_pk_fma_f32 v[10:11], v[18:19], v[28:29], v[6:7] op_sel:[0,0,1] op_sel_hi:[1,1,0]
	v_pk_fma_f32 v[6:7], v[18:19], v[28:29], v[6:7] op_sel:[0,0,1] op_sel_hi:[0,1,0] neg_lo:[0,0,1] neg_hi:[0,0,1]
	v_mov_b32_e32 v11, v7
	v_pk_mul_f32 v[6:7], v[12:13], v[30:31]
	v_pk_fma_f32 v[14:15], v[66:67], v[32:33], v[14:15] op_sel:[0,0,1] op_sel_hi:[1,1,0] neg_lo:[0,0,1] neg_hi:[0,0,1]
	v_pk_fma_f32 v[12:13], v[68:69], v[30:31], v[6:7] op_sel:[0,0,1] op_sel_hi:[1,1,0]
	v_pk_fma_f32 v[6:7], v[68:69], v[30:31], v[6:7] op_sel:[0,0,1] op_sel_hi:[1,1,0] neg_lo:[0,0,1] neg_hi:[0,0,1]
	v_mov_b32_e32 v17, v15
	v_mov_b32_e32 v13, v7
	v_mov_b32_e32 v6, v7
	v_mov_b32_e32 v7, v16
	v_mov_b32_e32 v2, v3
	v_mov_b32_e32 v3, v26
	v_mov_b32_e32 v14, v15
	v_mov_b32_e32 v15, v12
	v_pk_add_f32 v[4:5], v[4:5], v[6:7] neg_lo:[0,1] neg_hi:[0,1]
	s_mov_b32 s10, s7
	s_mov_b32 s11, s6
	v_pk_add_f32 v[24:25], v[36:37], v[10:11]
	v_pk_add_f32 v[2:3], v[2:3], v[14:15] neg_lo:[0,1] neg_hi:[0,1]
	v_pk_add_f32 v[6:7], v[36:37], v[10:11] neg_lo:[0,1] neg_hi:[0,1]
	v_pk_mul_f32 v[10:11], v[4:5], s[10:11]
	v_pk_add_f32 v[18:19], v[34:35], v[16:17]
	v_pk_add_f32 v[22:23], v[26:27], v[12:13]
	v_pk_mul_f32 v[6:7], v[6:7], s[4:5] op_sel_hi:[1,0]
	v_pk_fma_f32 v[10:11], v[2:3], s[6:7], v[10:11]
	v_pk_add_f32 v[12:13], v[20:21], v[8:9] neg_lo:[0,1] neg_hi:[0,1]
	s_mov_b32 s10, 0x3eaf1d44
	v_pk_add_f32 v[28:29], v[22:23], v[18:19]
	v_pk_add_f32 v[10:11], v[6:7], v[10:11] op_sel:[1,0] op_sel_hi:[0,1]
	v_pk_mul_f32 v[14:15], v[12:13], s[10:11] op_sel_hi:[1,0]
	s_mov_b32 s14, 0x3f441b7d
	v_pk_add_f32 v[30:31], v[24:25], v[28:29]
	v_pk_add_f32 v[10:11], v[14:15], v[10:11] op_sel:[1,0] op_sel_hi:[0,1]
	v_pk_fma_f32 v[14:15], v[18:19], s[14:15], v[0:1] op_sel_hi:[1,0,1]
	s_mov_b32 s16, 0x3e31d0d4
	v_pk_add_f32 v[30:31], v[20:21], v[30:31]
	v_pk_fma_f32 v[14:15], v[22:23], s[16:17], v[14:15] op_sel_hi:[1,0,1]
	v_pk_add_f32 v[30:31], v[8:9], v[30:31]
	v_pk_fma_f32 v[14:15], v[24:25], 0.5, v[14:15] op_sel_hi:[1,0,1] neg_lo:[1,0,0] neg_hi:[1,0,0]
	v_pk_add_f32 v[8:9], v[20:21], v[8:9]
	s_mov_b32 s18, 0x3f708fb2
	v_pk_fma_f32 v[14:15], v[8:9], s[18:19], v[14:15] op_sel_hi:[1,0,1] neg_lo:[1,0,0] neg_hi:[1,0,0]
	v_pk_add_f32 v[30:31], v[30:31], v[0:1]
	v_pk_add_f32 v[16:17], v[14:15], v[10:11] neg_lo:[0,1] neg_hi:[0,1]
	v_pk_add_f32 v[14:15], v[14:15], v[10:11]
	ds_write_b64 v131, v[30:31]
	v_fma_f32 v14, 2.0, v10, v16
	v_mov_b32_e32 v17, v15
	v_fmac_f32_e32 v15, -2.0, v11
	v_pk_mul_f32 v[10:11], v[12:13], s[6:7] op_sel_hi:[1,0]
	v_mov_b32_e32 v20, v2
	v_mov_b32_e32 v21, v5
	s_mov_b32 s6, s7
	v_pk_fma_f32 v[30:31], v[8:9], s[14:15], v[0:1] op_sel_hi:[1,0,1]
	v_pk_fma_f32 v[10:11], v[20:21], s[6:7], v[10:11] op_sel:[0,0,1] op_sel_hi:[1,0,0] neg_lo:[0,0,1] neg_hi:[0,0,1]
	v_pk_fma_f32 v[30:31], v[18:19], s[16:17], v[30:31] op_sel_hi:[1,0,1]
	v_pk_add_f32 v[10:11], v[10:11], v[6:7] op_sel:[0,1] op_sel_hi:[1,0] neg_lo:[0,1] neg_hi:[0,1]
	v_mov_b32_e32 v26, v4
	v_mov_b32_e32 v27, v3
	v_pk_fma_f32 v[30:31], v[24:25], 0.5, v[30:31] op_sel_hi:[1,0,1] neg_lo:[1,0,0] neg_hi:[1,0,0]
	v_pk_fma_f32 v[10:11], v[26:27], s[10:11], v[10:11] op_sel_hi:[1,0,1]
	v_pk_fma_f32 v[30:31], v[22:23], s[18:19], v[30:31] op_sel_hi:[1,0,1] neg_lo:[1,0,0] neg_hi:[1,0,0]
	s_nop 0
	v_pk_add_f32 v[32:33], v[30:31], v[10:11] neg_lo:[0,1] neg_hi:[0,1]
	v_pk_add_f32 v[30:31], v[30:31], v[10:11]
	s_nop 0
	v_mov_b32_e32 v33, v31
	ds_write2_b64 v253, v[16:17], v[32:33] offset0:51 offset1:102
	v_mov_b32_e32 v16, v5
	v_mov_b32_e32 v17, v2
	v_pk_add_f32 v[16:17], v[12:13], v[16:17]
	v_mov_b32_e32 v2, v3
	v_mov_b32_e32 v3, v4
	v_fma_f32 v30, 2.0, v10, v32
	v_fmac_f32_e32 v31, -2.0, v11
	v_pk_add_f32 v[10:11], v[24:25], v[0:1]
	v_pk_add_f32 v[2:3], v[16:17], v[2:3] neg_lo:[0,1] neg_hi:[0,1]
	v_pk_add_f32 v[4:5], v[8:9], v[28:29]
	v_pk_mul_f32 v[2:3], v[2:3], s[4:5] op_sel_hi:[1,0]
	v_pk_fma_f32 v[4:5], v[4:5], 0.5, v[10:11] op_sel_hi:[1,0,1] neg_lo:[1,0,0] neg_hi:[1,0,0]
	v_pk_fma_f32 v[0:1], v[22:23], s[14:15], v[0:1] op_sel_hi:[1,0,1]
	v_pk_add_f32 v[10:11], v[4:5], v[2:3] op_sel:[0,1] op_sel_hi:[1,0] neg_lo:[0,1] neg_hi:[0,1]
	v_pk_add_f32 v[4:5], v[4:5], v[2:3] op_sel:[0,1] op_sel_hi:[1,0]
	s_mov_b32 s4, 0xbf248dbb
	v_fma_f32 v4, 2.0, v3, v10
	v_mov_b32_e32 v11, v5
	v_fmac_f32_e32 v5, -2.0, v2
	v_pk_mul_f32 v[2:3], v[12:13], s[6:7] op_sel_hi:[1,0]
	v_pk_fma_f32 v[0:1], v[8:9], s[16:17], v[0:1] op_sel_hi:[1,0,1]
	v_pk_fma_f32 v[2:3], v[26:27], s[4:5], v[2:3] op_sel:[0,0,1] op_sel_hi:[1,0,0] neg_lo:[0,0,1] neg_hi:[0,0,1]
	v_pk_fma_f32 v[0:1], v[24:25], 0.5, v[0:1] op_sel_hi:[1,0,1] neg_lo:[1,0,0] neg_hi:[1,0,0]
	v_pk_add_f32 v[2:3], v[6:7], v[2:3] op_sel:[1,0] op_sel_hi:[0,1]
	v_pk_fma_f32 v[2:3], v[20:21], s[10:11], v[2:3] op_sel_hi:[1,0,1]
	v_pk_fma_f32 v[0:1], v[18:19], s[18:19], v[0:1] op_sel_hi:[1,0,1] neg_lo:[1,0,0] neg_hi:[1,0,0]
	s_nop 0
	v_pk_add_f32 v[6:7], v[0:1], v[2:3] neg_lo:[0,1] neg_hi:[0,1]
	v_pk_add_f32 v[8:9], v[0:1], v[2:3]
	v_add_u32_e32 v1, 0x400, v253
	v_fma_f32 v8, 2.0, v2, v6
	v_mov_b32_e32 v7, v9
	v_fmac_f32_e32 v9, -2.0, v3
	v_add_u32_e32 v0, 0x800, v253
	ds_write2_b64 v253, v[10:11], v[6:7] offset0:153 offset1:204
	ds_write2_b64 v1, v[8:9], v[4:5] offset0:127 offset1:178
	;; [unrolled: 1-line block ×3, first 2 shown]
	s_waitcnt lgkmcnt(0)
	s_barrier
	s_and_b64 exec, exec, vcc
	s_cbranch_execz .LBB0_15
; %bb.14:
	v_accvgpr_read_b32 v16, a0
	global_load_dwordx2 v[2:3], v16, s[8:9]
	v_mad_u64_u32 v[6:7], s[4:5], s2, v48, 0
	ds_read_b64 v[8:9], v131
	v_mad_u64_u32 v[10:11], s[6:7], s0, v132, 0
	v_mov_b32_e32 v12, v7
	v_mov_b32_e32 v14, v11
	v_mad_u64_u32 v[12:13], s[2:3], s3, v48, v[12:13]
	v_mov_b32_e32 v4, s12
	v_mov_b32_e32 v5, s13
	;; [unrolled: 3-line block ×3, first 2 shown]
	v_lshl_add_u64 v[4:5], v[6:7], 3, v[4:5]
	v_lshl_add_u64 v[6:7], v[10:11], 3, v[4:5]
	s_mov_b32 s4, 0x672e4abd
	s_mov_b32 s5, 0x3f61d8f5
	v_mov_b32_e32 v10, 0xd8
	s_mulk_i32 s1, 0xd8
	s_waitcnt vmcnt(0) lgkmcnt(0)
	v_mul_f32_e32 v4, v9, v3
	v_mul_f32_e32 v3, v8, v3
	v_fmac_f32_e32 v4, v8, v2
	v_fma_f32 v5, v2, v9, -v3
	v_cvt_f64_f32_e32 v[2:3], v4
	v_cvt_f64_f32_e32 v[4:5], v5
	v_mul_f64 v[2:3], v[2:3], s[4:5]
	v_mul_f64 v[4:5], v[4:5], s[4:5]
	v_cvt_f32_f64_e32 v2, v[2:3]
	v_cvt_f32_f64_e32 v3, v[4:5]
	global_store_dwordx2 v[6:7], v[2:3], off
	global_load_dwordx2 v[8:9], v16, s[8:9] offset:216
	ds_read2_b64 v[2:5], v253 offset0:27 offset1:54
	v_mad_u64_u32 v[6:7], s[2:3], s0, v10, v[6:7]
	v_add_u32_e32 v7, s1, v7
	s_waitcnt vmcnt(0) lgkmcnt(0)
	v_mul_f32_e32 v11, v3, v9
	v_mul_f32_e32 v9, v2, v9
	v_fmac_f32_e32 v11, v2, v8
	v_fma_f32 v8, v8, v3, -v9
	v_cvt_f64_f32_e32 v[2:3], v11
	v_cvt_f64_f32_e32 v[8:9], v8
	v_mul_f64 v[2:3], v[2:3], s[4:5]
	v_mul_f64 v[8:9], v[8:9], s[4:5]
	v_cvt_f32_f64_e32 v2, v[2:3]
	v_cvt_f32_f64_e32 v3, v[8:9]
	global_store_dwordx2 v[6:7], v[2:3], off
	global_load_dwordx2 v[2:3], v16, s[8:9] offset:432
	v_mad_u64_u32 v[6:7], s[2:3], s0, v10, v[6:7]
	v_add_u32_e32 v7, s1, v7
	s_waitcnt vmcnt(0)
	v_mul_f32_e32 v8, v5, v3
	v_mul_f32_e32 v3, v4, v3
	v_fmac_f32_e32 v8, v4, v2
	v_fma_f32 v4, v2, v5, -v3
	v_cvt_f64_f32_e32 v[2:3], v8
	v_cvt_f64_f32_e32 v[4:5], v4
	v_mul_f64 v[2:3], v[2:3], s[4:5]
	v_mul_f64 v[4:5], v[4:5], s[4:5]
	v_cvt_f32_f64_e32 v2, v[2:3]
	v_cvt_f32_f64_e32 v3, v[4:5]
	global_store_dwordx2 v[6:7], v[2:3], off
	global_load_dwordx2 v[8:9], v16, s[8:9] offset:648
	ds_read2_b64 v[2:5], v253 offset0:81 offset1:108
	v_mad_u64_u32 v[6:7], s[2:3], s0, v10, v[6:7]
	v_add_u32_e32 v7, s1, v7
	s_waitcnt vmcnt(0) lgkmcnt(0)
	v_mul_f32_e32 v11, v3, v9
	v_mul_f32_e32 v9, v2, v9
	v_fmac_f32_e32 v11, v2, v8
	v_fma_f32 v8, v8, v3, -v9
	v_cvt_f64_f32_e32 v[2:3], v11
	v_cvt_f64_f32_e32 v[8:9], v8
	v_mul_f64 v[2:3], v[2:3], s[4:5]
	v_mul_f64 v[8:9], v[8:9], s[4:5]
	v_cvt_f32_f64_e32 v2, v[2:3]
	v_cvt_f32_f64_e32 v3, v[8:9]
	global_store_dwordx2 v[6:7], v[2:3], off
	global_load_dwordx2 v[2:3], v16, s[8:9] offset:864
	v_mad_u64_u32 v[6:7], s[2:3], s0, v10, v[6:7]
	v_add_u32_e32 v7, s1, v7
	s_waitcnt vmcnt(0)
	;; [unrolled: 31-line block ×8, first 2 shown]
	v_mul_f32_e32 v6, v3, v1
	v_mul_f32_e32 v1, v2, v1
	v_fmac_f32_e32 v6, v2, v0
	v_fma_f32 v2, v0, v3, -v1
	v_cvt_f64_f32_e32 v[0:1], v6
	v_cvt_f64_f32_e32 v[2:3], v2
	v_mul_f64 v[0:1], v[0:1], s[4:5]
	v_mul_f64 v[2:3], v[2:3], s[4:5]
	v_cvt_f32_f64_e32 v0, v[0:1]
	v_cvt_f32_f64_e32 v1, v[2:3]
	global_store_dwordx2 v[4:5], v[0:1], off
.LBB0_15:
	s_endpgm
	.section	.rodata,"a",@progbits
	.p2align	6, 0x0
	.amdhsa_kernel bluestein_single_back_len459_dim1_sp_op_CI_CI
		.amdhsa_group_segment_fixed_size 18360
		.amdhsa_private_segment_fixed_size 0
		.amdhsa_kernarg_size 104
		.amdhsa_user_sgpr_count 2
		.amdhsa_user_sgpr_dispatch_ptr 0
		.amdhsa_user_sgpr_queue_ptr 0
		.amdhsa_user_sgpr_kernarg_segment_ptr 1
		.amdhsa_user_sgpr_dispatch_id 0
		.amdhsa_user_sgpr_kernarg_preload_length 0
		.amdhsa_user_sgpr_kernarg_preload_offset 0
		.amdhsa_user_sgpr_private_segment_size 0
		.amdhsa_uses_dynamic_stack 0
		.amdhsa_enable_private_segment 0
		.amdhsa_system_sgpr_workgroup_id_x 1
		.amdhsa_system_sgpr_workgroup_id_y 0
		.amdhsa_system_sgpr_workgroup_id_z 0
		.amdhsa_system_sgpr_workgroup_info 0
		.amdhsa_system_vgpr_workitem_id 0
		.amdhsa_next_free_vgpr 300
		.amdhsa_next_free_sgpr 58
		.amdhsa_accum_offset 256
		.amdhsa_reserve_vcc 1
		.amdhsa_float_round_mode_32 0
		.amdhsa_float_round_mode_16_64 0
		.amdhsa_float_denorm_mode_32 3
		.amdhsa_float_denorm_mode_16_64 3
		.amdhsa_dx10_clamp 1
		.amdhsa_ieee_mode 1
		.amdhsa_fp16_overflow 0
		.amdhsa_tg_split 0
		.amdhsa_exception_fp_ieee_invalid_op 0
		.amdhsa_exception_fp_denorm_src 0
		.amdhsa_exception_fp_ieee_div_zero 0
		.amdhsa_exception_fp_ieee_overflow 0
		.amdhsa_exception_fp_ieee_underflow 0
		.amdhsa_exception_fp_ieee_inexact 0
		.amdhsa_exception_int_div_zero 0
	.end_amdhsa_kernel
	.text
.Lfunc_end0:
	.size	bluestein_single_back_len459_dim1_sp_op_CI_CI, .Lfunc_end0-bluestein_single_back_len459_dim1_sp_op_CI_CI
                                        ; -- End function
	.section	.AMDGPU.csdata,"",@progbits
; Kernel info:
; codeLenInByte = 16388
; NumSgprs: 64
; NumVgprs: 256
; NumAgprs: 44
; TotalNumVgprs: 300
; ScratchSize: 0
; MemoryBound: 0
; FloatMode: 240
; IeeeMode: 1
; LDSByteSize: 18360 bytes/workgroup (compile time only)
; SGPRBlocks: 7
; VGPRBlocks: 37
; NumSGPRsForWavesPerEU: 64
; NumVGPRsForWavesPerEU: 300
; AccumOffset: 256
; Occupancy: 1
; WaveLimiterHint : 1
; COMPUTE_PGM_RSRC2:SCRATCH_EN: 0
; COMPUTE_PGM_RSRC2:USER_SGPR: 2
; COMPUTE_PGM_RSRC2:TRAP_HANDLER: 0
; COMPUTE_PGM_RSRC2:TGID_X_EN: 1
; COMPUTE_PGM_RSRC2:TGID_Y_EN: 0
; COMPUTE_PGM_RSRC2:TGID_Z_EN: 0
; COMPUTE_PGM_RSRC2:TIDIG_COMP_CNT: 0
; COMPUTE_PGM_RSRC3_GFX90A:ACCUM_OFFSET: 63
; COMPUTE_PGM_RSRC3_GFX90A:TG_SPLIT: 0
	.text
	.p2alignl 6, 3212836864
	.fill 256, 4, 3212836864
	.type	__hip_cuid_838c839ace4623d4,@object ; @__hip_cuid_838c839ace4623d4
	.section	.bss,"aw",@nobits
	.globl	__hip_cuid_838c839ace4623d4
__hip_cuid_838c839ace4623d4:
	.byte	0                               ; 0x0
	.size	__hip_cuid_838c839ace4623d4, 1

	.ident	"AMD clang version 19.0.0git (https://github.com/RadeonOpenCompute/llvm-project roc-6.4.0 25133 c7fe45cf4b819c5991fe208aaa96edf142730f1d)"
	.section	".note.GNU-stack","",@progbits
	.addrsig
	.addrsig_sym __hip_cuid_838c839ace4623d4
	.amdgpu_metadata
---
amdhsa.kernels:
  - .agpr_count:     44
    .args:
      - .actual_access:  read_only
        .address_space:  global
        .offset:         0
        .size:           8
        .value_kind:     global_buffer
      - .actual_access:  read_only
        .address_space:  global
        .offset:         8
        .size:           8
        .value_kind:     global_buffer
      - .actual_access:  read_only
        .address_space:  global
        .offset:         16
        .size:           8
        .value_kind:     global_buffer
      - .actual_access:  read_only
        .address_space:  global
        .offset:         24
        .size:           8
        .value_kind:     global_buffer
      - .actual_access:  read_only
        .address_space:  global
        .offset:         32
        .size:           8
        .value_kind:     global_buffer
      - .offset:         40
        .size:           8
        .value_kind:     by_value
      - .address_space:  global
        .offset:         48
        .size:           8
        .value_kind:     global_buffer
      - .address_space:  global
        .offset:         56
        .size:           8
        .value_kind:     global_buffer
      - .address_space:  global
        .offset:         64
        .size:           8
        .value_kind:     global_buffer
      - .address_space:  global
        .offset:         72
        .size:           8
        .value_kind:     global_buffer
      - .offset:         80
        .size:           4
        .value_kind:     by_value
      - .address_space:  global
        .offset:         88
        .size:           8
        .value_kind:     global_buffer
      - .address_space:  global
        .offset:         96
        .size:           8
        .value_kind:     global_buffer
    .group_segment_fixed_size: 18360
    .kernarg_segment_align: 8
    .kernarg_segment_size: 104
    .language:       OpenCL C
    .language_version:
      - 2
      - 0
    .max_flat_workgroup_size: 255
    .name:           bluestein_single_back_len459_dim1_sp_op_CI_CI
    .private_segment_fixed_size: 0
    .sgpr_count:     64
    .sgpr_spill_count: 0
    .symbol:         bluestein_single_back_len459_dim1_sp_op_CI_CI.kd
    .uniform_work_group_size: 1
    .uses_dynamic_stack: false
    .vgpr_count:     300
    .vgpr_spill_count: 0
    .wavefront_size: 64
amdhsa.target:   amdgcn-amd-amdhsa--gfx950
amdhsa.version:
  - 1
  - 2
...

	.end_amdgpu_metadata
